;; amdgpu-corpus repo=ROCm/rocFFT kind=compiled arch=gfx1030 opt=O3
	.text
	.amdgcn_target "amdgcn-amd-amdhsa--gfx1030"
	.amdhsa_code_object_version 6
	.protected	bluestein_single_back_len1485_dim1_sp_op_CI_CI ; -- Begin function bluestein_single_back_len1485_dim1_sp_op_CI_CI
	.globl	bluestein_single_back_len1485_dim1_sp_op_CI_CI
	.p2align	8
	.type	bluestein_single_back_len1485_dim1_sp_op_CI_CI,@function
bluestein_single_back_len1485_dim1_sp_op_CI_CI: ; @bluestein_single_back_len1485_dim1_sp_op_CI_CI
; %bb.0:
	s_load_dwordx4 s[16:19], s[4:5], 0x28
	v_mul_u32_u24_e32 v1, 0x18e, v0
	v_mov_b32_e32 v69, 0
	s_mov_b32 s0, exec_lo
	v_lshrrev_b32_e32 v1, 16, v1
	v_add_nc_u32_e32 v68, s6, v1
	s_waitcnt lgkmcnt(0)
	v_cmpx_gt_u64_e64 s[16:17], v[68:69]
	s_cbranch_execz .LBB0_18
; %bb.1:
	s_clause 0x1
	s_load_dwordx4 s[0:3], s[4:5], 0x18
	s_load_dwordx4 s[12:15], s[4:5], 0x0
	v_mul_lo_u16 v1, 0xa5, v1
	v_sub_nc_u16 v30, v0, v1
	v_and_b32_e32 v98, 0xffff, v30
	v_lshlrev_b32_e32 v97, 3, v98
	v_add_co_u32 v61, null, 0xa5, v98
	s_waitcnt lgkmcnt(0)
	s_load_dwordx4 s[8:11], s[0:1], 0x0
	s_clause 0x1
	global_load_dwordx2 v[81:82], v97, s[12:13]
	global_load_dwordx2 v[69:70], v97, s[12:13] offset:1320
	v_add_co_u32 v22, s0, s12, v97
	v_add_co_ci_u32_e64 v23, null, s13, 0, s0
	v_add_nc_u32_e32 v24, 0x800, v97
	v_add_nc_u32_e32 v26, 0x1e00, v97
	v_add_co_u32 v60, null, 0x14a, v98
	s_waitcnt lgkmcnt(0)
	v_mad_u64_u32 v[0:1], null, s10, v68, 0
	v_mad_u64_u32 v[2:3], null, s8, v98, 0
	s_mul_i32 s0, s9, 0xf78
	s_mul_hi_u32 s1, s8, 0xf78
	s_mul_i32 s6, s8, 0xf78
	s_add_i32 s1, s1, s0
	s_mul_i32 s0, s9, 0xffffe638
	v_mad_u64_u32 v[4:5], null, s11, v68, v[1:2]
	s_sub_i32 s0, s0, s8
	v_mad_u64_u32 v[5:6], null, s9, v98, v[3:4]
	v_mov_b32_e32 v1, v4
	v_lshlrev_b64 v[0:1], 3, v[0:1]
	v_mov_b32_e32 v3, v5
	v_add_co_u32 v0, vcc_lo, s18, v0
	v_lshlrev_b64 v[2:3], 3, v[2:3]
	v_add_co_ci_u32_e32 v1, vcc_lo, s19, v1, vcc_lo
	v_add_co_u32 v0, vcc_lo, v0, v2
	v_add_co_ci_u32_e32 v1, vcc_lo, v1, v3, vcc_lo
	v_add_co_u32 v2, vcc_lo, v0, s6
	;; [unrolled: 2-line block ×4, first 2 shown]
	v_add_co_ci_u32_e32 v7, vcc_lo, 0, v23, vcc_lo
	v_mad_u64_u32 v[8:9], null, 0xffffe638, s8, v[4:5]
	v_add_co_u32 v10, vcc_lo, 0x1800, v22
	v_add_co_ci_u32_e32 v11, vcc_lo, 0, v23, vcc_lo
	v_add_co_u32 v12, vcc_lo, 0x1000, v22
	v_add_nc_u32_e32 v9, s0, v9
	v_add_co_ci_u32_e32 v13, vcc_lo, 0, v23, vcc_lo
	v_add_co_u32 v14, vcc_lo, v8, s6
	v_add_co_ci_u32_e32 v15, vcc_lo, s1, v9, vcc_lo
	global_load_dwordx2 v[85:86], v[6:7], off offset:1912
	v_add_co_u32 v16, vcc_lo, v14, s6
	v_add_co_ci_u32_e32 v17, vcc_lo, s1, v15, vcc_lo
	s_clause 0x1
	global_load_dwordx2 v[0:1], v[0:1], off
	global_load_dwordx2 v[2:3], v[2:3], off
	v_add_co_u32 v18, vcc_lo, 0x2000, v22
	v_mad_u64_u32 v[20:21], null, 0xffffe638, s8, v[16:17]
	global_load_dwordx2 v[83:84], v[10:11], off offset:1776
	global_load_dwordx2 v[4:5], v[4:5], off
	v_add_co_ci_u32_e32 v19, vcc_lo, 0, v23, vcc_lo
	v_add_co_u32 v22, vcc_lo, 0x2800, v22
	v_add_co_ci_u32_e32 v23, vcc_lo, 0, v23, vcc_lo
	v_add_nc_u32_e32 v21, s0, v21
	global_load_dwordx2 v[8:9], v[8:9], off
	s_clause 0x2
	global_load_dwordx2 v[79:80], v[12:13], off offset:1184
	global_load_dwordx2 v[77:78], v[18:19], off offset:1048
	global_load_dwordx2 v[75:76], v[6:7], off offset:592
	global_load_dwordx2 v[6:7], v[14:15], off
	v_add_co_u32 v14, vcc_lo, v20, s6
	global_load_dwordx2 v[12:13], v[16:17], off
	v_add_co_ci_u32_e32 v15, vcc_lo, s1, v21, vcc_lo
	global_load_dwordx2 v[16:17], v[20:21], off
	v_add_co_u32 v18, vcc_lo, v14, s6
	v_add_co_ci_u32_e32 v19, vcc_lo, s1, v15, vcc_lo
	global_load_dwordx2 v[71:72], v[10:11], off offset:456
	global_load_dwordx2 v[10:11], v[14:15], off
	global_load_dwordx2 v[73:74], v[22:23], off offset:320
	global_load_dwordx2 v[14:15], v[18:19], off
	v_add_nc_u32_e32 v22, 0x1400, v97
	v_add_nc_u32_e32 v23, 0x2400, v97
	s_load_dwordx4 s[8:11], s[2:3], 0x0
	s_load_dwordx2 s[2:3], s[4:5], 0x38
	v_cmp_gt_u16_e32 vcc_lo, 0x84, v30
	s_waitcnt vmcnt(14)
	v_mul_f32_e32 v18, v1, v82
	s_waitcnt vmcnt(13)
	v_mul_f32_e32 v19, v2, v86
	v_mul_f32_e32 v25, v0, v82
	;; [unrolled: 1-line block ×3, first 2 shown]
	v_fmac_f32_e32 v18, v0, v81
	s_waitcnt vmcnt(11)
	v_mul_f32_e32 v0, v5, v84
	v_fma_f32 v21, v3, v85, -v19
	v_fma_f32 v19, v1, v81, -v25
	v_mul_f32_e32 v1, v4, v84
	v_fmac_f32_e32 v20, v2, v85
	s_waitcnt vmcnt(10)
	v_mul_f32_e32 v2, v9, v70
	v_mul_f32_e32 v3, v8, v70
	v_fmac_f32_e32 v0, v4, v83
	s_waitcnt vmcnt(6)
	v_mul_f32_e32 v4, v7, v80
	v_fma_f32 v1, v5, v83, -v1
	v_mul_f32_e32 v5, v6, v80
	v_fmac_f32_e32 v2, v8, v69
	v_fma_f32 v3, v9, v69, -v3
	s_waitcnt vmcnt(5)
	v_mul_f32_e32 v8, v13, v78
	v_mul_f32_e32 v9, v12, v78
	v_fmac_f32_e32 v4, v6, v79
	s_waitcnt vmcnt(4)
	v_mul_f32_e32 v6, v17, v76
	v_fma_f32 v5, v7, v79, -v5
	v_mul_f32_e32 v7, v16, v76
	v_fmac_f32_e32 v8, v12, v77
	v_fma_f32 v9, v13, v77, -v9
	s_waitcnt vmcnt(2)
	v_mul_f32_e32 v12, v11, v72
	v_mul_f32_e32 v13, v10, v72
	ds_write_b64 v97, v[20:21] offset:3960
	v_fmac_f32_e32 v6, v16, v75
	s_waitcnt vmcnt(0)
	v_mul_f32_e32 v16, v15, v74
	v_mul_f32_e32 v20, v14, v74
	v_fma_f32 v7, v17, v75, -v7
	v_fmac_f32_e32 v12, v10, v71
	v_fma_f32 v13, v11, v71, -v13
	v_fmac_f32_e32 v16, v14, v73
	v_fma_f32 v17, v15, v73, -v20
	ds_write_b64 v97, v[0:1] offset:7920
	ds_write2_b64 v97, v[18:19], v[2:3] offset1:165
	ds_write_b64 v97, v[6:7] offset:2640
	ds_write2_b64 v22, v[4:5], v[12:13] offset0:20 offset1:185
	ds_write2_b64 v23, v[8:9], v[16:17] offset0:3 offset1:168
	s_waitcnt lgkmcnt(0)
	s_barrier
	buffer_gl0_inv
	ds_read2_b64 v[34:37], v97 offset1:165
	ds_read2_b64 v[16:19], v24 offset0:74 offset1:239
	ds_read2_b64 v[1:4], v26 offset0:30 offset1:195
	;; [unrolled: 1-line block ×3, first 2 shown]
	ds_read_b64 v[9:10], v97 offset:10560
	v_mul_u32_u24_e32 v12, 3, v61
	v_mul_u32_u24_e32 v13, 3, v60
	v_mov_b32_e32 v0, 3
	v_mul_lo_u16 v11, v30, 3
	s_waitcnt lgkmcnt(0)
	v_lshlrev_b32_e32 v90, 3, v12
	v_lshlrev_b32_e32 v89, 3, v13
	s_barrier
	v_lshlrev_b32_sdwa v91, v0, v11 dst_sel:DWORD dst_unused:UNUSED_PAD src0_sel:DWORD src1_sel:WORD_0
	buffer_gl0_inv
                                        ; implicit-def: $vgpr30
	v_add_f32_e32 v14, v35, v19
	v_add_f32_e32 v12, v18, v1
	v_add_f32_e32 v15, v19, v2
	v_sub_f32_e32 v13, v19, v2
	v_add_f32_e32 v19, v5, v3
	v_add_f32_e32 v23, v6, v4
	v_add_f32_e32 v26, v7, v9
	v_sub_f32_e32 v27, v8, v10
	v_add_f32_e32 v28, v17, v8
	v_add_f32_e32 v8, v8, v10
	v_add_f32_e32 v11, v34, v18
	v_sub_f32_e32 v20, v18, v1
	v_add_f32_e32 v18, v36, v5
	v_sub_f32_e32 v21, v6, v4
	v_add_f32_e32 v22, v37, v6
	v_sub_f32_e32 v24, v5, v3
	v_fma_f32 v5, -0.5, v12, v34
	v_fma_f32 v6, -0.5, v15, v35
	v_add_f32_e32 v25, v16, v7
	v_fma_f32 v36, -0.5, v19, v36
	v_fmac_f32_e32 v37, -0.5, v23
	v_sub_f32_e32 v29, v7, v9
	v_fma_f32 v16, -0.5, v26, v16
	v_fmac_f32_e32 v17, -0.5, v8
	v_add_f32_e32 v1, v11, v1
	v_add_f32_e32 v2, v14, v2
	v_fmamk_f32 v7, v13, 0x3f5db3d7, v5
	v_fmamk_f32 v8, v20, 0xbf5db3d7, v6
	v_fmac_f32_e32 v5, 0xbf5db3d7, v13
	v_fmac_f32_e32 v6, 0x3f5db3d7, v20
	v_add_f32_e32 v3, v18, v3
	v_add_f32_e32 v4, v22, v4
	;; [unrolled: 1-line block ×4, first 2 shown]
	v_fmamk_f32 v9, v21, 0x3f5db3d7, v36
	v_fmamk_f32 v10, v24, 0xbf5db3d7, v37
	v_fmac_f32_e32 v36, 0xbf5db3d7, v21
	v_fmac_f32_e32 v37, 0x3f5db3d7, v24
	v_fmamk_f32 v20, v27, 0x3f5db3d7, v16
	v_fmamk_f32 v21, v29, 0xbf5db3d7, v17
	v_fmac_f32_e32 v16, 0xbf5db3d7, v27
	v_fmac_f32_e32 v17, 0x3f5db3d7, v29
	ds_write2_b64 v91, v[1:2], v[7:8] offset1:1
	ds_write_b64 v91, v[5:6] offset:16
	ds_write2_b64 v90, v[3:4], v[9:10] offset1:1
	ds_write_b64 v90, v[36:37] offset:16
	;; [unrolled: 2-line block ×3, first 2 shown]
	s_waitcnt lgkmcnt(0)
	s_barrier
	buffer_gl0_inv
	ds_read_b64 v[44:45], v97
	ds_read_b64 v[28:29], v97 offset:2376
	ds_read_b64 v[26:27], v97 offset:4752
	;; [unrolled: 1-line block ×4, first 2 shown]
	s_and_saveexec_b32 s0, vcc_lo
	s_cbranch_execz .LBB0_3
; %bb.2:
	ds_read_b64 v[36:37], v97 offset:1320
	ds_read_b64 v[18:19], v97 offset:3696
	ds_read_b64 v[20:21], v97 offset:6072
	ds_read_b64 v[16:17], v97 offset:8448
	ds_read_b64 v[30:31], v97 offset:10824
.LBB0_3:
	s_or_b32 exec_lo, exec_lo, s0
	v_and_b32_e32 v32, 0xff, v98
	v_mov_b32_e32 v2, 0xaaab
	v_mov_b32_e32 v35, 15
	v_mul_lo_u16 v1, 0xab, v32
	v_lshrrev_b16 v33, 9, v1
	v_mul_u32_u24_sdwa v1, v61, v2 dst_sel:DWORD dst_unused:UNUSED_PAD src0_sel:WORD_0 src1_sel:DWORD
	v_mul_lo_u16 v2, v33, 3
	v_lshrrev_b32_e32 v101, 17, v1
	v_mul_u32_u24_sdwa v33, v33, v35 dst_sel:DWORD dst_unused:UNUSED_PAD src0_sel:WORD_0 src1_sel:DWORD
	v_sub_nc_u16 v1, v98, v2
	v_mul_lo_u16 v2, v101, 3
	v_and_b32_e32 v34, 0xff, v1
	v_sub_nc_u16 v102, v61, v2
	v_lshlrev_b32_e32 v1, 5, v34
	v_lshlrev_b16 v2, 2, v102
	v_add_lshl_u32 v103, v33, v34, 3
	global_load_dwordx4 v[12:15], v1, s[14:15]
	v_lshlrev_b32_sdwa v0, v0, v2 dst_sel:DWORD dst_unused:UNUSED_PAD src0_sel:DWORD src1_sel:WORD_0
	s_clause 0x2
	global_load_dwordx4 v[8:11], v1, s[14:15] offset:16
	global_load_dwordx4 v[4:7], v0, s[14:15]
	global_load_dwordx4 v[0:3], v0, s[14:15] offset:16
	s_waitcnt vmcnt(0) lgkmcnt(0)
	s_barrier
	buffer_gl0_inv
	v_mul_f32_e32 v33, v29, v13
	v_mul_f32_e32 v34, v28, v13
	v_mul_f32_e32 v35, v27, v15
	v_mul_f32_e32 v38, v26, v15
	v_mul_f32_e32 v39, v25, v9
	v_mul_f32_e32 v40, v24, v9
	v_mul_f32_e32 v41, v23, v11
	v_mul_f32_e32 v46, v22, v11
	v_mul_f32_e32 v42, v19, v5
	v_mul_f32_e32 v43, v18, v5
	v_mul_f32_e32 v47, v21, v7
	v_mul_f32_e32 v52, v20, v7
	v_mul_f32_e32 v48, v17, v1
	v_mul_f32_e32 v53, v16, v1
	v_mul_f32_e32 v49, v31, v3
	v_mul_f32_e32 v58, v30, v3
	v_fma_f32 v28, v28, v12, -v33
	v_fmac_f32_e32 v34, v29, v12
	v_fma_f32 v26, v26, v14, -v35
	v_fmac_f32_e32 v38, v27, v14
	;; [unrolled: 2-line block ×8, first 2 shown]
	v_add_f32_e32 v20, v44, v28
	v_add_f32_e32 v21, v26, v24
	v_sub_f32_e32 v23, v34, v46
	v_sub_f32_e32 v27, v28, v26
	;; [unrolled: 1-line block ×3, first 2 shown]
	v_add_f32_e32 v30, v28, v22
	v_add_f32_e32 v35, v45, v34
	;; [unrolled: 1-line block ×3, first 2 shown]
	v_sub_f32_e32 v41, v34, v38
	v_add_f32_e32 v48, v34, v46
	v_sub_f32_e32 v34, v38, v34
	v_sub_f32_e32 v49, v40, v46
	v_add_f32_e32 v57, v19, v16
	v_add_f32_e32 v59, v18, v17
	;; [unrolled: 1-line block ×4, first 2 shown]
	v_sub_f32_e32 v25, v38, v40
	v_sub_f32_e32 v31, v26, v28
	;; [unrolled: 1-line block ×6, first 2 shown]
	v_add_f32_e32 v54, v36, v18
	v_sub_f32_e32 v55, v18, v19
	v_sub_f32_e32 v56, v17, v16
	;; [unrolled: 1-line block ×3, first 2 shown]
	v_add_f32_e32 v87, v37, v43
	v_sub_f32_e32 v93, v19, v16
	v_sub_f32_e32 v94, v52, v53
	;; [unrolled: 1-line block ×4, first 2 shown]
	v_add_f32_e32 v20, v20, v26
	v_add_f32_e32 v26, v27, v29
	v_fma_f32 v50, -0.5, v21, v44
	v_fma_f32 v44, -0.5, v30, v44
	v_add_f32_e32 v27, v35, v38
	v_fma_f32 v51, -0.5, v39, v45
	v_fmac_f32_e32 v45, -0.5, v48
	v_add_f32_e32 v30, v34, v49
	v_fma_f32 v48, -0.5, v57, v36
	v_fmac_f32_e32 v36, -0.5, v59
	v_fma_f32 v49, -0.5, v64, v37
	v_fmac_f32_e32 v37, -0.5, v67
	v_sub_f32_e32 v63, v16, v17
	v_sub_f32_e32 v65, v43, v52
	;; [unrolled: 1-line block ×5, first 2 shown]
	v_add_f32_e32 v21, v31, v33
	v_add_f32_e32 v29, v41, v42
	;; [unrolled: 1-line block ×7, first 2 shown]
	v_fmamk_f32 v40, v23, 0x3f737871, v50
	v_fmac_f32_e32 v50, 0xbf737871, v23
	v_fmamk_f32 v42, v25, 0xbf737871, v44
	v_fmac_f32_e32 v44, 0x3f737871, v25
	;; [unrolled: 2-line block ×8, first 2 shown]
	v_add_f32_e32 v33, v62, v63
	v_add_f32_e32 v34, v65, v66
	;; [unrolled: 1-line block ×5, first 2 shown]
	v_fmac_f32_e32 v40, 0x3f167918, v25
	v_fmac_f32_e32 v50, 0xbf167918, v25
	;; [unrolled: 1-line block ×16, first 2 shown]
	v_add_f32_e32 v38, v20, v22
	v_add_f32_e32 v39, v24, v46
	;; [unrolled: 1-line block ×4, first 2 shown]
	v_fmac_f32_e32 v40, 0x3e9e377a, v26
	v_fmac_f32_e32 v50, 0x3e9e377a, v26
	;; [unrolled: 1-line block ×16, first 2 shown]
	ds_write2_b64 v103, v[38:39], v[40:41] offset1:3
	ds_write2_b64 v103, v[42:43], v[44:45] offset0:6 offset1:9
	ds_write_b64 v103, v[50:51] offset:96
	s_and_saveexec_b32 s0, vcc_lo
	s_cbranch_execz .LBB0_5
; %bb.4:
	v_mad_u16 v16, v101, 15, v102
	v_mov_b32_e32 v17, 3
	v_lshlrev_b32_sdwa v16, v17, v16 dst_sel:DWORD dst_unused:UNUSED_PAD src0_sel:DWORD src1_sel:WORD_0
	ds_write2_b64 v16, v[52:53], v[54:55] offset1:3
	ds_write2_b64 v16, v[56:57], v[36:37] offset0:6 offset1:9
	ds_write_b64 v16, v[48:49] offset:96
.LBB0_5:
	s_or_b32 exec_lo, exec_lo, s0
	v_cmp_gt_u16_e64 s0, 0x87, v98
	s_waitcnt lgkmcnt(0)
	s_barrier
	buffer_gl0_inv
                                        ; implicit-def: $vgpr58
	s_and_saveexec_b32 s1, s0
	s_cbranch_execz .LBB0_7
; %bb.6:
	v_add_nc_u32_e32 v16, 0x2000, v97
	v_add_nc_u32_e32 v17, 0x800, v97
	;; [unrolled: 1-line block ×3, first 2 shown]
	ds_read2_b64 v[46:49], v16 offset0:56 offset1:191
	v_add_nc_u32_e32 v16, 0x1800, v97
	ds_read2_b64 v[38:41], v97 offset1:135
	ds_read_b64 v[58:59], v97 offset:10800
	ds_read2_b64 v[42:45], v17 offset0:14 offset1:149
	ds_read2_b64 v[50:53], v18 offset0:28 offset1:163
	;; [unrolled: 1-line block ×3, first 2 shown]
	s_waitcnt lgkmcnt(5)
	v_mov_b32_e32 v36, v46
	v_mov_b32_e32 v37, v47
.LBB0_7:
	s_or_b32 exec_lo, exec_lo, s1
	v_mul_lo_u16 v16, 0x89, v32
	v_lshrrev_b16 v100, 11, v16
	v_mul_lo_u16 v16, v100, 15
	v_sub_nc_u16 v16, v98, v16
	v_and_b32_e32 v99, 0xff, v16
	v_mad_u64_u32 v[32:33], null, 0x50, v99, s[14:15]
	s_clause 0x4
	global_load_dwordx4 v[28:31], v[32:33], off offset:96
	global_load_dwordx4 v[24:27], v[32:33], off offset:112
	;; [unrolled: 1-line block ×5, first 2 shown]
	s_waitcnt vmcnt(0) lgkmcnt(0)
	s_barrier
	buffer_gl0_inv
	v_mul_f32_e32 v47, v41, v29
	v_mul_f32_e32 v104, v40, v29
	;; [unrolled: 1-line block ×11, first 2 shown]
	v_fma_f32 v108, v40, v28, -v47
	v_fmac_f32_e32 v104, v41, v28
	v_fma_f32 v47, v58, v34, -v113
	v_fmac_f32_e32 v46, v59, v34
	v_mul_f32_e32 v65, v45, v25
	v_mul_f32_e32 v94, v44, v25
	;; [unrolled: 1-line block ×3, first 2 shown]
	v_fma_f32 v107, v42, v30, -v64
	v_fmac_f32_e32 v95, v43, v30
	v_fma_f32 v105, v50, v26, -v87
	v_fmac_f32_e32 v93, v51, v26
	v_fma_f32 v51, v36, v22, -v111
	v_fma_f32 v50, v48, v32, -v112
	v_fmac_f32_e32 v62, v49, v32
	v_sub_f32_e32 v116, v108, v47
	v_sub_f32_e32 v111, v104, v46
	v_mul_f32_e32 v88, v53, v17
	v_mul_f32_e32 v92, v52, v17
	;; [unrolled: 1-line block ×5, first 2 shown]
	v_fma_f32 v106, v44, v24, -v65
	v_fmac_f32_e32 v94, v45, v24
	v_fmac_f32_e32 v63, v37, v22
	v_add_f32_e32 v36, v108, v47
	v_add_f32_e32 v40, v104, v46
	v_sub_f32_e32 v119, v107, v50
	v_sub_f32_e32 v114, v95, v62
	v_mul_f32_e32 v113, 0xbf0a6770, v111
	v_mul_f32_e32 v117, 0xbf0a6770, v116
	;; [unrolled: 1-line block ×5, first 2 shown]
	v_fma_f32 v96, v52, v16, -v88
	v_fmac_f32_e32 v92, v53, v16
	v_fma_f32 v53, v54, v18, -v109
	v_fma_f32 v52, v56, v20, -v110
	v_fmac_f32_e32 v66, v57, v20
	v_add_f32_e32 v37, v107, v50
	v_add_f32_e32 v41, v95, v62
	v_sub_f32_e32 v120, v106, v51
	v_sub_f32_e32 v115, v94, v63
	v_mul_f32_e32 v109, 0xbf68dda4, v114
	v_mul_f32_e32 v110, 0xbf68dda4, v119
	;; [unrolled: 1-line block ×4, first 2 shown]
	v_fmamk_f32 v64, v36, 0x3f575c64, v113
	v_fma_f32 v65, 0x3f575c64, v40, -v117
	v_fmamk_f32 v139, v36, 0x3ed4b147, v123
	v_fma_f32 v141, 0x3ed4b147, v40, -v132
	v_fmac_f32_e32 v67, v55, v18
	v_add_f32_e32 v42, v106, v51
	v_add_f32_e32 v44, v94, v63
	v_sub_f32_e32 v121, v105, v52
	v_sub_f32_e32 v112, v93, v66
	v_mul_f32_e32 v57, 0xbf7d64f0, v115
	v_mul_f32_e32 v59, 0xbf7d64f0, v120
	;; [unrolled: 1-line block ×4, first 2 shown]
	v_fmamk_f32 v87, v37, 0x3ed4b147, v109
	v_fma_f32 v88, 0x3ed4b147, v41, -v110
	v_fmamk_f32 v140, v37, 0xbf27a4f4, v122
	v_fma_f32 v142, 0xbf27a4f4, v41, -v127
	v_add_f32_e32 v64, v38, v64
	v_add_f32_e32 v65, v39, v65
	;; [unrolled: 1-line block ×6, first 2 shown]
	v_sub_f32_e32 v118, v92, v67
	v_sub_f32_e32 v131, v96, v53
	v_mul_f32_e32 v56, 0xbf4178ce, v112
	v_mul_f32_e32 v58, 0xbf4178ce, v121
	;; [unrolled: 1-line block ×4, first 2 shown]
	v_fmamk_f32 v133, v42, 0xbe11bafb, v57
	v_fma_f32 v134, 0xbe11bafb, v44, -v59
	v_fmamk_f32 v143, v42, 0xbf75a155, v124
	v_fma_f32 v144, 0xbf75a155, v44, -v128
	v_add_f32_e32 v64, v87, v64
	v_add_f32_e32 v65, v88, v65
	v_add_f32_e32 v87, v140, v139
	v_add_f32_e32 v88, v142, v141
	v_add_f32_e32 v48, v96, v53
	v_add_f32_e32 v49, v92, v67
	v_mul_f32_e32 v54, 0xbe903f40, v118
	v_mul_f32_e32 v55, 0xbe903f40, v131
	;; [unrolled: 1-line block ×4, first 2 shown]
	v_fmamk_f32 v135, v43, 0xbf27a4f4, v56
	v_fma_f32 v136, 0xbf27a4f4, v45, -v58
	v_fmamk_f32 v145, v43, 0xbe11bafb, v125
	v_fma_f32 v146, 0xbe11bafb, v45, -v129
	v_add_f32_e32 v64, v133, v64
	v_add_f32_e32 v65, v134, v65
	;; [unrolled: 1-line block ×4, first 2 shown]
	v_fmamk_f32 v137, v48, 0xbf75a155, v54
	v_fma_f32 v138, 0xbf75a155, v49, -v55
	v_fmamk_f32 v139, v48, 0x3f575c64, v126
	v_fma_f32 v133, 0x3f575c64, v49, -v130
	v_add_f32_e32 v64, v135, v64
	v_add_f32_e32 v65, v136, v65
	;; [unrolled: 1-line block ×8, first 2 shown]
	s_and_saveexec_b32 s1, s0
	s_cbranch_execz .LBB0_9
; %bb.8:
	v_mul_f32_e32 v144, 0xbe903f40, v116
	v_mul_f32_e32 v149, 0x3f0a6770, v119
	;; [unrolled: 1-line block ×5, first 2 shown]
	v_fmamk_f32 v133, v40, 0xbf75a155, v144
	v_fmamk_f32 v134, v41, 0x3f575c64, v149
	v_mul_f32_e32 v161, 0xbf7d64f0, v131
	v_mul_f32_e32 v163, 0x3f0a6770, v114
	v_fma_f32 v135, 0xbf75a155, v36, -v160
	v_add_f32_e32 v133, v39, v133
	v_mul_f32_e32 v164, 0xbf4178ce, v116
	v_mul_f32_e32 v165, 0xbf4178ce, v115
	v_fma_f32 v136, 0x3f575c64, v37, -v163
	v_add_f32_e32 v135, v38, v135
	v_add_f32_e32 v133, v134, v133
	v_fmamk_f32 v134, v44, 0xbf27a4f4, v153
	v_mul_f32_e32 v166, 0x3f7d64f0, v119
	v_mul_f32_e32 v138, 0x3f575c64, v40
	v_add_f32_e32 v104, v39, v104
	v_add_f32_e32 v135, v136, v135
	v_add_f32_e32 v133, v134, v133
	v_fmamk_f32 v134, v45, 0x3ed4b147, v157
	v_fma_f32 v136, 0xbf27a4f4, v42, -v165
	v_mul_f32_e32 v167, 0x3f68dda4, v112
	v_fmamk_f32 v168, v41, 0xbe11bafb, v166
	v_mul_f32_e32 v169, 0xbf0a6770, v120
	v_add_f32_e32 v133, v134, v133
	v_fmamk_f32 v134, v49, 0xbe11bafb, v161
	v_mul_f32_e32 v137, 0x3f575c64, v36
	v_mul_f32_e32 v142, 0x3ed4b147, v41
	v_add_f32_e32 v117, v117, v138
	v_add_f32_e32 v95, v104, v95
	;; [unrolled: 1-line block ×3, first 2 shown]
	v_fmamk_f32 v133, v40, 0xbf27a4f4, v164
	v_add_f32_e32 v104, v38, v108
	v_add_f32_e32 v135, v136, v135
	v_fma_f32 v136, 0x3ed4b147, v43, -v167
	v_mul_f32_e32 v170, 0xbf7d64f0, v118
	v_add_f32_e32 v133, v39, v133
	v_mul_f32_e32 v171, 0xbe903f40, v121
	v_mul_f32_e32 v141, 0x3ed4b147, v37
	;; [unrolled: 1-line block ×3, first 2 shown]
	v_sub_f32_e32 v113, v137, v113
	v_add_f32_e32 v133, v168, v133
	v_fmamk_f32 v168, v44, 0x3f575c64, v169
	v_add_f32_e32 v117, v39, v117
	v_add_f32_e32 v108, v110, v142
	;; [unrolled: 1-line block ×5, first 2 shown]
	v_fma_f32 v136, 0xbe11bafb, v48, -v170
	v_mul_f32_e32 v172, 0xbf4178ce, v111
	v_add_f32_e32 v168, v168, v133
	v_fmamk_f32 v173, v45, 0xbf75a155, v171
	v_mul_f32_e32 v174, 0x3f68dda4, v131
	v_mul_f32_e32 v146, 0xbe11bafb, v42
	;; [unrolled: 1-line block ×3, first 2 shown]
	v_add_f32_e32 v110, v38, v113
	v_sub_f32_e32 v109, v141, v109
	v_add_f32_e32 v104, v108, v117
	v_add_f32_e32 v59, v59, v147
	;; [unrolled: 1-line block ×5, first 2 shown]
	v_fma_f32 v135, 0xbf27a4f4, v36, -v172
	v_mul_f32_e32 v175, 0x3f7d64f0, v114
	v_add_f32_e32 v136, v173, v168
	v_fmamk_f32 v168, v49, 0x3ed4b147, v174
	v_mul_f32_e32 v116, 0xbf7d64f0, v116
	v_mul_f32_e32 v151, 0xbf27a4f4, v43
	;; [unrolled: 1-line block ×3, first 2 shown]
	v_add_f32_e32 v107, v109, v110
	v_sub_f32_e32 v57, v146, v57
	v_add_f32_e32 v59, v59, v104
	v_add_f32_e32 v58, v58, v152
	;; [unrolled: 1-line block ×5, first 2 shown]
	v_fma_f32 v173, 0xbe11bafb, v37, -v175
	v_mul_f32_e32 v176, 0xbf0a6770, v115
	v_add_f32_e32 v136, v168, v136
	v_fmamk_f32 v168, v40, 0xbe11bafb, v116
	v_mul_f32_e32 v119, 0x3e903f40, v119
	v_mul_f32_e32 v156, 0xbf75a155, v48
	v_add_f32_e32 v57, v57, v107
	v_sub_f32_e32 v56, v151, v56
	v_add_f32_e32 v58, v58, v59
	v_add_f32_e32 v59, v92, v67
	v_add_f32_e32 v67, v93, v96
	v_add_f32_e32 v55, v55, v158
	v_add_f32_e32 v135, v173, v135
	v_fma_f32 v173, 0x3f575c64, v42, -v176
	v_mul_f32_e32 v177, 0xbe903f40, v112
	v_add_f32_e32 v168, v39, v168
	v_fmamk_f32 v178, v41, 0xbf75a155, v119
	v_mul_f32_e32 v120, 0x3f68dda4, v120
	v_add_f32_e32 v56, v56, v57
	v_sub_f32_e32 v57, v156, v54
	v_add_f32_e32 v59, v59, v66
	v_add_f32_e32 v66, v67, v53
	;; [unrolled: 1-line block ×3, first 2 shown]
	v_fma_f32 v55, 0xbf75a155, v40, -v144
	v_add_f32_e32 v135, v173, v135
	v_fma_f32 v173, 0xbf75a155, v43, -v177
	v_mul_f32_e32 v179, 0x3f68dda4, v118
	v_add_f32_e32 v168, v178, v168
	v_fmamk_f32 v178, v44, 0x3ed4b147, v120
	v_mul_f32_e32 v121, 0xbf0a6770, v121
	v_add_f32_e32 v53, v57, v56
	v_add_f32_e32 v56, v59, v63
	;; [unrolled: 1-line block ×4, first 2 shown]
	v_fma_f32 v57, 0x3f575c64, v41, -v149
	v_fmac_f32_e32 v160, 0xbf75a155, v36
	v_add_f32_e32 v135, v173, v135
	v_mul_f32_e32 v173, 0xbf7d64f0, v111
	v_fma_f32 v111, 0x3ed4b147, v48, -v179
	v_add_f32_e32 v168, v178, v168
	v_fmamk_f32 v178, v45, 0x3f575c64, v121
	v_mul_f32_e32 v131, 0xbf4178ce, v131
	v_add_f32_e32 v56, v56, v62
	v_add_f32_e32 v52, v52, v51
	;; [unrolled: 1-line block ×3, first 2 shown]
	v_fma_f32 v57, 0xbf27a4f4, v44, -v153
	v_mul_f32_e32 v140, 0x3ed4b147, v40
	v_add_f32_e32 v58, v38, v160
	v_fmac_f32_e32 v163, 0x3f575c64, v37
	v_mul_f32_e32 v139, 0x3ed4b147, v36
	v_fma_f32 v180, 0xbe11bafb, v36, -v173
	v_mul_f32_e32 v181, 0x3e903f40, v114
	v_add_f32_e32 v135, v111, v135
	v_add_f32_e32 v111, v178, v168
	v_fmamk_f32 v114, v49, 0xbf27a4f4, v131
	v_add_f32_e32 v51, v56, v46
	v_add_f32_e32 v46, v52, v50
	;; [unrolled: 1-line block ×3, first 2 shown]
	v_fma_f32 v56, 0x3ed4b147, v45, -v157
	v_add_f32_e32 v132, v132, v140
	v_add_f32_e32 v52, v163, v58
	v_fmac_f32_e32 v165, 0xbf27a4f4, v42
	v_fma_f32 v57, 0xbf27a4f4, v40, -v164
	v_fma_f32 v40, 0xbe11bafb, v40, -v116
	v_mul_f32_e32 v143, 0xbf27a4f4, v37
	v_mul_f32_e32 v145, 0xbf27a4f4, v41
	v_add_f32_e32 v168, v38, v180
	v_fma_f32 v178, 0xbf75a155, v37, -v181
	v_mul_f32_e32 v180, 0x3f68dda4, v115
	v_add_f32_e32 v115, v114, v111
	v_sub_f32_e32 v111, v139, v123
	v_add_f32_e32 v50, v46, v47
	v_add_f32_e32 v47, v56, v55
	v_fma_f32 v56, 0xbe11bafb, v49, -v161
	v_fmac_f32_e32 v172, 0xbf27a4f4, v36
	v_fmac_f32_e32 v173, 0xbe11bafb, v36
	v_add_f32_e32 v132, v39, v132
	v_add_f32_e32 v46, v165, v52
	;; [unrolled: 1-line block ×4, first 2 shown]
	v_fma_f32 v40, 0xbf75a155, v41, -v119
	v_mul_f32_e32 v148, 0xbf75a155, v42
	v_mul_f32_e32 v150, 0xbf75a155, v44
	v_add_f32_e32 v114, v178, v168
	v_fma_f32 v123, 0x3ed4b147, v42, -v180
	v_add_f32_e32 v127, v127, v145
	v_add_f32_e32 v111, v38, v111
	v_sub_f32_e32 v122, v143, v122
	v_fma_f32 v55, 0xbe11bafb, v41, -v166
	v_add_f32_e32 v47, v56, v47
	v_add_f32_e32 v56, v38, v172
	v_fmac_f32_e32 v175, 0xbe11bafb, v37
	v_add_f32_e32 v38, v38, v173
	v_fmac_f32_e32 v181, 0xbf75a155, v37
	v_add_f32_e32 v37, v40, v39
	v_fma_f32 v39, 0x3ed4b147, v44, -v120
	v_mul_f32_e32 v154, 0xbe11bafb, v43
	v_mul_f32_e32 v155, 0xbe11bafb, v45
	v_add_f32_e32 v114, v123, v114
	v_mul_f32_e32 v123, 0xbf0a6770, v112
	v_add_f32_e32 v112, v127, v132
	v_add_f32_e32 v127, v128, v150
	;; [unrolled: 1-line block ×3, first 2 shown]
	v_sub_f32_e32 v122, v148, v124
	v_add_f32_e32 v52, v55, v52
	v_fma_f32 v55, 0x3f575c64, v44, -v169
	v_add_f32_e32 v56, v175, v56
	v_fmac_f32_e32 v176, 0x3f575c64, v42
	v_add_f32_e32 v38, v181, v38
	v_fmac_f32_e32 v180, 0x3ed4b147, v42
	v_add_f32_e32 v37, v39, v37
	v_mov_b32_e32 v39, 0xa5
	v_mul_f32_e32 v159, 0x3f575c64, v48
	v_mul_f32_e32 v162, 0x3f575c64, v49
	v_fma_f32 v124, 0x3f575c64, v43, -v123
	v_mul_f32_e32 v118, 0xbf4178ce, v118
	v_add_f32_e32 v112, v127, v112
	v_add_f32_e32 v127, v129, v155
	;; [unrolled: 1-line block ×3, first 2 shown]
	v_sub_f32_e32 v122, v154, v125
	v_fmac_f32_e32 v167, 0x3ed4b147, v43
	v_add_f32_e32 v52, v55, v52
	v_fma_f32 v55, 0xbf75a155, v45, -v171
	v_add_f32_e32 v41, v176, v56
	v_fmac_f32_e32 v177, 0xbf75a155, v43
	v_fma_f32 v42, 0x3f575c64, v45, -v121
	v_add_f32_e32 v38, v180, v38
	v_fmac_f32_e32 v123, 0x3f575c64, v43
	v_mul_u32_u24_sdwa v39, v100, v39 dst_sel:DWORD dst_unused:UNUSED_PAD src0_sel:WORD_0 src1_sel:DWORD
	v_add_f32_e32 v114, v124, v114
	v_fma_f32 v124, 0xbf27a4f4, v48, -v118
	v_add_f32_e32 v112, v127, v112
	v_add_f32_e32 v125, v130, v162
	v_add_f32_e32 v111, v122, v111
	v_sub_f32_e32 v122, v159, v126
	v_add_f32_e32 v46, v167, v46
	v_fmac_f32_e32 v170, 0xbe11bafb, v48
	v_add_f32_e32 v36, v55, v52
	v_fma_f32 v40, 0x3ed4b147, v49, -v174
	v_add_f32_e32 v41, v177, v41
	v_fmac_f32_e32 v179, 0x3ed4b147, v48
	v_add_f32_e32 v42, v42, v37
	v_fma_f32 v43, 0xbf27a4f4, v49, -v131
	v_add_f32_e32 v38, v123, v38
	v_fmac_f32_e32 v118, 0xbf27a4f4, v48
	v_add_lshl_u32 v44, v39, v99, 3
	v_add_f32_e32 v114, v124, v114
	v_add_f32_e32 v112, v125, v112
	;; [unrolled: 1-line block ×8, first 2 shown]
	ds_write2_b64 v44, v[50:51], v[53:54] offset1:15
	ds_write2_b64 v44, v[111:112], v[114:115] offset0:30 offset1:45
	ds_write2_b64 v44, v[135:136], v[133:134] offset0:60 offset1:75
	;; [unrolled: 1-line block ×4, first 2 shown]
	ds_write_b64 v44, v[87:88] offset:1200
.LBB0_9:
	s_or_b32 exec_lo, exec_lo, s1
	v_mov_b32_e32 v36, 0x8d31
	v_lshlrev_b32_e32 v63, 4, v98
	s_waitcnt lgkmcnt(0)
	s_barrier
	buffer_gl0_inv
	v_mul_u32_u24_sdwa v36, v60, v36 dst_sel:DWORD dst_unused:UNUSED_PAD src0_sel:WORD_0 src1_sel:DWORD
	v_add_nc_u32_e32 v62, 0x800, v97
	v_add_nc_u32_e32 v67, 0x1e00, v97
	;; [unrolled: 1-line block ×3, first 2 shown]
	ds_read2_b64 v[44:47], v97 offset1:165
	v_lshrrev_b32_e32 v40, 16, v36
	ds_read_b64 v[92:93], v97 offset:10560
	v_lshlrev_b32_e32 v61, 4, v61
	v_mov_b32_e32 v95, 3
	v_add_nc_u32_e32 v131, 0x2400, v97
	v_sub_nc_u16 v36, v60, v40
	v_lshrrev_b16 v41, 1, v36
	global_load_dwordx4 v[36:39], v63, s[14:15] offset:1296
	v_add_nc_u16 v40, v41, v40
	v_lshrrev_b16 v40, 7, v40
	v_mul_lo_u16 v40, 0xa5, v40
	v_sub_nc_u16 v94, v60, v40
	v_lshlrev_b32_e32 v60, 4, v60
	v_lshlrev_b16 v40, 4, v94
	v_lshlrev_b32_sdwa v104, v95, v94 dst_sel:DWORD dst_unused:UNUSED_PAD src0_sel:DWORD src1_sel:WORD_0
	v_and_b32_e32 v40, 0xffff, v40
	v_add_co_u32 v40, s1, s14, v40
	v_add_co_ci_u32_e64 v41, null, s15, 0, s1
	v_add_co_u32 v63, s1, s14, v63
	v_add_co_ci_u32_e64 v96, null, s15, 0, s1
	global_load_dwordx4 v[40:43], v[40:41], off offset:1296
	ds_read2_b64 v[48:51], v62 offset0:74 offset1:239
	ds_read2_b64 v[52:55], v67 offset0:30 offset1:195
	;; [unrolled: 1-line block ×3, first 2 shown]
	v_add_co_u32 v105, s1, s14, v61
	v_add_co_ci_u32_e64 v106, null, s15, 0, s1
	v_add_co_u32 v107, s1, s14, v60
	v_add_co_ci_u32_e64 v108, null, s15, 0, s1
	v_add_co_u32 v60, s1, 0x800, v63
	v_add_co_ci_u32_e64 v61, s1, 0, v96, s1
	v_add_co_u32 v94, s1, 0x800, v105
	v_add_co_ci_u32_e64 v95, s1, 0, v106, s1
	v_add_nc_u32_e32 v63, 0x1e00, v104
	s_waitcnt vmcnt(0) lgkmcnt(0)
	s_barrier
	buffer_gl0_inv
	v_mul_f32_e32 v105, v50, v37
	v_mul_f32_e32 v109, v52, v39
	;; [unrolled: 1-line block ×5, first 2 shown]
	v_fmac_f32_e32 v105, v51, v36
	v_fmac_f32_e32 v109, v53, v38
	v_mul_f32_e32 v111, v56, v37
	v_mul_f32_e32 v112, v55, v39
	;; [unrolled: 1-line block ×3, first 2 shown]
	v_fma_f32 v50, v50, v36, -v96
	v_fma_f32 v51, v52, v38, -v106
	v_fma_f32 v52, v56, v36, -v110
	v_add_f32_e32 v96, v105, v109
	v_fmac_f32_e32 v111, v57, v36
	v_fma_f32 v53, v54, v38, -v112
	v_fmac_f32_e32 v113, v55, v38
	v_add_f32_e32 v54, v44, v50
	v_add_f32_e32 v55, v50, v51
	v_sub_f32_e32 v56, v105, v109
	v_add_f32_e32 v57, v45, v105
	v_sub_f32_e32 v105, v50, v51
	v_add_f32_e32 v106, v46, v52
	v_fma_f32 v45, -0.5, v96, v45
	v_add_f32_e32 v110, v52, v53
	v_sub_f32_e32 v115, v52, v53
	v_add_f32_e32 v50, v54, v51
	v_fma_f32 v44, -0.5, v55, v44
	v_add_f32_e32 v51, v57, v109
	v_add_f32_e32 v52, v106, v53
	v_fmamk_f32 v55, v105, 0xbf5db3d7, v45
	v_fmac_f32_e32 v45, 0x3f5db3d7, v105
	v_sub_f32_e32 v112, v111, v113
	v_add_f32_e32 v114, v47, v111
	v_add_f32_e32 v111, v111, v113
	v_fma_f32 v46, -0.5, v110, v46
	v_fmamk_f32 v54, v56, 0x3f5db3d7, v44
	v_fmac_f32_e32 v44, 0xbf5db3d7, v56
	v_add_f32_e32 v53, v114, v113
	v_fmac_f32_e32 v47, -0.5, v111
	v_fmamk_f32 v56, v112, 0x3f5db3d7, v46
	v_fmac_f32_e32 v46, 0xbf5db3d7, v112
	v_mul_f32_e32 v57, v59, v41
	v_mul_f32_e32 v96, v93, v43
	;; [unrolled: 1-line block ×4, first 2 shown]
	v_fma_f32 v58, v58, v40, -v57
	v_fma_f32 v92, v92, v42, -v96
	v_fmac_f32_e32 v105, v59, v40
	v_fmac_f32_e32 v106, v93, v42
	v_fmamk_f32 v57, v115, 0xbf5db3d7, v47
	v_add_f32_e32 v93, v48, v58
	v_add_f32_e32 v59, v58, v92
	v_sub_f32_e32 v110, v58, v92
	v_add_f32_e32 v96, v105, v106
	v_sub_f32_e32 v109, v105, v106
	v_add_f32_e32 v105, v49, v105
	v_fma_f32 v48, -0.5, v59, v48
	v_fmac_f32_e32 v47, 0x3f5db3d7, v115
	v_fmac_f32_e32 v49, -0.5, v96
	v_add_f32_e32 v58, v93, v92
	v_add_f32_e32 v59, v105, v106
	v_fmamk_f32 v92, v109, 0x3f5db3d7, v48
	v_fmac_f32_e32 v48, 0xbf5db3d7, v109
	v_fmamk_f32 v93, v110, 0xbf5db3d7, v49
	v_fmac_f32_e32 v49, 0x3f5db3d7, v110
	ds_write2_b64 v97, v[50:51], v[54:55] offset1:165
	ds_write2_b64 v62, v[44:45], v[52:53] offset0:74 offset1:239
	ds_write2_b64 v66, v[56:57], v[46:47] offset0:20 offset1:185
	;; [unrolled: 1-line block ×3, first 2 shown]
	ds_write_b64 v104, v[48:49] offset:10560
	v_add_co_u32 v44, s1, 0x800, v107
	s_waitcnt lgkmcnt(0)
	s_barrier
	buffer_gl0_inv
	global_load_dwordx4 v[52:55], v[60:61], off offset:1888
	v_add_co_ci_u32_e64 v45, s1, 0, v108, s1
	s_clause 0x1
	global_load_dwordx4 v[48:51], v[94:95], off offset:1888
	global_load_dwordx4 v[44:47], v[44:45], off offset:1888
	ds_read2_b64 v[56:59], v62 offset0:74 offset1:239
	ds_read2_b64 v[92:95], v67 offset0:30 offset1:195
	;; [unrolled: 1-line block ×3, first 2 shown]
	ds_read_b64 v[60:61], v97 offset:10560
	ds_read2_b64 v[109:112], v97 offset1:165
	v_lshlrev_b32_e32 v63, 3, v98
	v_add_co_u32 v63, s1, s12, v63
	v_add_co_ci_u32_e64 v96, null, s13, 0, s1
	v_add_co_u32 v113, s1, 0x2800, v63
	v_add_co_ci_u32_e64 v114, s1, 0, v96, s1
	s_waitcnt vmcnt(2) lgkmcnt(4)
	v_mul_f32_e32 v115, v59, v53
	v_mul_f32_e32 v116, v58, v53
	s_waitcnt lgkmcnt(3)
	v_mul_f32_e32 v117, v93, v55
	v_mul_f32_e32 v118, v92, v55
	s_waitcnt vmcnt(1) lgkmcnt(2)
	v_mul_f32_e32 v119, v106, v49
	v_mul_f32_e32 v120, v105, v49
	;; [unrolled: 1-line block ×4, first 2 shown]
	s_waitcnt vmcnt(0)
	v_mul_f32_e32 v123, v108, v45
	v_mul_f32_e32 v124, v107, v45
	s_waitcnt lgkmcnt(1)
	v_mul_f32_e32 v125, v61, v47
	v_mul_f32_e32 v126, v60, v47
	v_fma_f32 v58, v58, v52, -v115
	v_fmac_f32_e32 v116, v59, v52
	v_fma_f32 v59, v92, v54, -v117
	v_fmac_f32_e32 v118, v93, v54
	v_fma_f32 v92, v105, v48, -v119
	v_fmac_f32_e32 v120, v106, v48
	v_fma_f32 v93, v94, v50, -v121
	v_fmac_f32_e32 v122, v95, v50
	v_fma_f32 v94, v107, v44, -v123
	v_fmac_f32_e32 v124, v108, v44
	v_fma_f32 v95, v60, v46, -v125
	v_fmac_f32_e32 v126, v61, v46
	s_waitcnt lgkmcnt(0)
	v_add_f32_e32 v60, v109, v58
	v_add_f32_e32 v61, v58, v59
	;; [unrolled: 1-line block ×3, first 2 shown]
	v_sub_f32_e32 v106, v116, v118
	v_add_f32_e32 v105, v110, v116
	v_add_f32_e32 v116, v92, v93
	v_sub_f32_e32 v117, v120, v122
	v_add_f32_e32 v119, v112, v120
	v_add_f32_e32 v120, v120, v122
	;; [unrolled: 1-line block ×3, first 2 shown]
	v_sub_f32_e32 v127, v124, v126
	v_add_f32_e32 v128, v57, v124
	v_add_f32_e32 v124, v124, v126
	v_sub_f32_e32 v108, v58, v59
	v_add_f32_e32 v58, v60, v59
	v_fma_f32 v60, -0.5, v61, v109
	v_fma_f32 v61, -0.5, v107, v110
	v_add_f32_e32 v115, v111, v92
	v_add_f32_e32 v123, v56, v94
	v_sub_f32_e32 v121, v92, v93
	v_sub_f32_e32 v129, v94, v95
	v_fma_f32 v111, -0.5, v116, v111
	v_fmac_f32_e32 v112, -0.5, v120
	v_fma_f32 v56, -0.5, v125, v56
	v_fmac_f32_e32 v57, -0.5, v124
	v_add_f32_e32 v59, v105, v118
	v_fmamk_f32 v105, v106, 0x3f5db3d7, v60
	v_fmac_f32_e32 v60, 0xbf5db3d7, v106
	v_fmamk_f32 v106, v108, 0xbf5db3d7, v61
	v_fmac_f32_e32 v61, 0x3f5db3d7, v108
	v_add_f32_e32 v92, v115, v93
	v_add_f32_e32 v93, v119, v122
	;; [unrolled: 1-line block ×4, first 2 shown]
	v_fmamk_f32 v107, v117, 0x3f5db3d7, v111
	v_fmamk_f32 v108, v121, 0xbf5db3d7, v112
	;; [unrolled: 1-line block ×4, first 2 shown]
	v_fmac_f32_e32 v111, 0xbf5db3d7, v117
	v_fmac_f32_e32 v112, 0x3f5db3d7, v121
	;; [unrolled: 1-line block ×4, first 2 shown]
	ds_write_b64 v97, v[105:106] offset:3960
	ds_write_b64 v97, v[60:61] offset:7920
	ds_write2_b64 v97, v[58:59], v[92:93] offset1:165
	ds_write_b64 v97, v[94:95] offset:2640
	ds_write2_b64 v66, v[107:108], v[109:110] offset0:20 offset1:185
	ds_write2_b64 v131, v[111:112], v[56:57] offset0:3 offset1:168
	s_waitcnt lgkmcnt(0)
	s_barrier
	buffer_gl0_inv
	global_load_dwordx2 v[60:61], v[113:114], off offset:1640
	v_add_co_u32 v56, s1, 0x2e68, v63
	v_add_co_ci_u32_e64 v57, s1, 0, v96, s1
	v_add_co_u32 v58, s1, 0x3800, v63
	v_add_co_ci_u32_e64 v59, s1, 0, v96, s1
	;; [unrolled: 2-line block ×3, first 2 shown]
	s_clause 0x2
	global_load_dwordx2 v[113:114], v[58:59], off offset:184
	global_load_dwordx2 v[115:116], v[56:57], off offset:1320
	;; [unrolled: 1-line block ×3, first 2 shown]
	v_add_co_u32 v56, s1, 0x4800, v63
	v_add_co_ci_u32_e64 v57, s1, 0, v96, s1
	v_add_co_u32 v94, s1, 0x4000, v63
	v_add_co_ci_u32_e64 v95, s1, 0, v96, s1
	s_clause 0x4
	global_load_dwordx2 v[119:120], v[58:59], off offset:1504
	global_load_dwordx2 v[121:122], v[56:57], off offset:1368
	;; [unrolled: 1-line block ×5, first 2 shown]
	ds_read2_b64 v[56:59], v97 offset1:165
	ds_read_b64 v[129:130], v97 offset:10560
	s_waitcnt vmcnt(8) lgkmcnt(1)
	v_mul_f32_e32 v63, v57, v61
	v_mul_f32_e32 v93, v56, v61
	v_add_nc_u32_e32 v61, 0xe00, v97
	v_fma_f32 v92, v56, v60, -v63
	v_fmac_f32_e32 v93, v57, v60
	v_add_nc_u32_e32 v63, 0x400, v97
	ds_write_b64 v97, v[92:93]
	ds_read2_b64 v[92:95], v62 offset0:74 offset1:239
	ds_read2_b64 v[105:108], v67 offset0:30 offset1:195
	;; [unrolled: 1-line block ×3, first 2 shown]
	s_waitcnt vmcnt(6)
	v_mul_f32_e32 v56, v59, v116
	v_mul_f32_e32 v57, v58, v116
	s_waitcnt vmcnt(5) lgkmcnt(4)
	v_mul_f32_e32 v96, v130, v118
	v_mul_f32_e32 v60, v129, v118
	v_add_nc_u32_e32 v118, 0x1800, v97
	v_fma_f32 v56, v58, v115, -v56
	v_fmac_f32_e32 v57, v59, v115
	v_fma_f32 v59, v129, v117, -v96
	v_fmac_f32_e32 v60, v130, v117
	s_waitcnt vmcnt(4) lgkmcnt(2)
	v_mul_f32_e32 v58, v95, v120
	v_mul_f32_e32 v115, v94, v120
	s_waitcnt vmcnt(3) lgkmcnt(1)
	v_mul_f32_e32 v116, v106, v122
	s_waitcnt vmcnt(2) lgkmcnt(0)
	v_mul_f32_e32 v129, v110, v124
	v_mul_f32_e32 v117, v109, v124
	;; [unrolled: 1-line block ×3, first 2 shown]
	s_waitcnt vmcnt(1)
	v_mul_f32_e32 v130, v108, v126
	v_mul_f32_e32 v120, v107, v126
	;; [unrolled: 1-line block ×4, first 2 shown]
	s_waitcnt vmcnt(0)
	v_mul_f32_e32 v132, v112, v128
	v_mul_f32_e32 v124, v111, v128
	v_fma_f32 v114, v94, v119, -v58
	v_fmac_f32_e32 v115, v95, v119
	v_fma_f32 v95, v105, v121, -v116
	v_fma_f32 v116, v109, v123, -v129
	v_fmac_f32_e32 v117, v110, v123
	v_fmac_f32_e32 v96, v106, v121
	v_fma_f32 v121, v92, v113, -v126
	v_fmac_f32_e32 v122, v93, v113
	v_fma_f32 v123, v111, v127, -v132
	;; [unrolled: 2-line block ×3, first 2 shown]
	v_fmac_f32_e32 v120, v108, v125
	ds_write2_b64 v61, v[114:115], v[116:117] offset0:47 offset1:212
	ds_write2_b64 v63, v[56:57], v[121:122] offset0:37 offset1:202
	;; [unrolled: 1-line block ×4, first 2 shown]
	s_waitcnt lgkmcnt(0)
	s_barrier
	buffer_gl0_inv
	ds_read2_b64 v[56:59], v97 offset1:165
	ds_read2_b64 v[60:63], v62 offset0:74 offset1:239
	ds_read2_b64 v[92:95], v67 offset0:30 offset1:195
	;; [unrolled: 1-line block ×3, first 2 shown]
	ds_read_b64 v[66:67], v97 offset:10560
	s_waitcnt lgkmcnt(0)
	s_barrier
	buffer_gl0_inv
	v_add_f32_e32 v96, v56, v62
	v_add_f32_e32 v109, v62, v92
	;; [unrolled: 1-line block ×5, first 2 shown]
	v_sub_f32_e32 v116, v106, v95
	v_add_f32_e32 v117, v59, v106
	v_add_f32_e32 v106, v106, v95
	;; [unrolled: 1-line block ×3, first 2 shown]
	v_sub_f32_e32 v120, v108, v67
	v_add_f32_e32 v121, v61, v108
	v_add_f32_e32 v108, v108, v67
	v_sub_f32_e32 v110, v63, v93
	v_sub_f32_e32 v113, v62, v92
	v_add_f32_e32 v114, v58, v105
	v_sub_f32_e32 v118, v105, v94
	v_add_f32_e32 v105, v60, v107
	v_add_f32_e32 v62, v96, v92
	v_fma_f32 v92, -0.5, v109, v56
	v_add_f32_e32 v63, v111, v93
	v_fma_f32 v93, -0.5, v112, v57
	v_fma_f32 v58, -0.5, v115, v58
	v_fmac_f32_e32 v59, -0.5, v106
	v_sub_f32_e32 v122, v107, v66
	v_fma_f32 v60, -0.5, v119, v60
	v_fmac_f32_e32 v61, -0.5, v108
	v_add_f32_e32 v56, v105, v66
	v_fmamk_f32 v105, v110, 0xbf5db3d7, v92
	v_fmamk_f32 v106, v113, 0x3f5db3d7, v93
	v_fmac_f32_e32 v92, 0x3f5db3d7, v110
	v_fmac_f32_e32 v93, 0xbf5db3d7, v113
	v_add_f32_e32 v94, v114, v94
	v_add_f32_e32 v95, v117, v95
	v_fmamk_f32 v107, v116, 0xbf5db3d7, v58
	v_fmamk_f32 v108, v118, 0x3f5db3d7, v59
	v_fmac_f32_e32 v58, 0x3f5db3d7, v116
	v_fmac_f32_e32 v59, 0xbf5db3d7, v118
	v_add_f32_e32 v57, v121, v67
	v_fmamk_f32 v66, v120, 0xbf5db3d7, v60
	v_fmamk_f32 v67, v122, 0x3f5db3d7, v61
	v_fmac_f32_e32 v60, 0x3f5db3d7, v120
	v_fmac_f32_e32 v61, 0xbf5db3d7, v122
	ds_write2_b64 v91, v[62:63], v[105:106] offset1:1
	ds_write_b64 v91, v[92:93] offset:16
	ds_write2_b64 v90, v[94:95], v[107:108] offset1:1
	ds_write_b64 v90, v[58:59] offset:16
	;; [unrolled: 2-line block ×3, first 2 shown]
	s_waitcnt lgkmcnt(0)
	s_barrier
	buffer_gl0_inv
	ds_read_b64 v[62:63], v97
	ds_read_b64 v[95:96], v97 offset:2376
	ds_read_b64 v[93:94], v97 offset:4752
	;; [unrolled: 1-line block ×4, first 2 shown]
	s_and_saveexec_b32 s1, vcc_lo
	s_cbranch_execz .LBB0_11
; %bb.10:
	ds_read_b64 v[58:59], v97 offset:1320
	ds_read_b64 v[56:57], v97 offset:3696
	;; [unrolled: 1-line block ×5, first 2 shown]
.LBB0_11:
	s_or_b32 exec_lo, exec_lo, s1
	s_waitcnt lgkmcnt(3)
	v_mul_f32_e32 v105, v13, v96
	v_mul_f32_e32 v13, v13, v95
	s_waitcnt lgkmcnt(2)
	v_mul_f32_e32 v106, v15, v94
	v_mul_f32_e32 v15, v15, v93
	s_waitcnt lgkmcnt(0)
	v_fmac_f32_e32 v105, v12, v95
	v_fma_f32 v12, v12, v96, -v13
	v_mul_f32_e32 v13, v9, v92
	v_mul_f32_e32 v9, v9, v91
	;; [unrolled: 1-line block ×3, first 2 shown]
	v_fmac_f32_e32 v106, v14, v93
	v_fma_f32 v14, v14, v94, -v15
	v_fmac_f32_e32 v13, v8, v91
	v_fma_f32 v8, v8, v92, -v9
	v_mul_f32_e32 v9, v11, v89
	v_mul_f32_e32 v11, v5, v57
	;; [unrolled: 1-line block ×3, first 2 shown]
	v_fmac_f32_e32 v95, v10, v89
	v_mul_f32_e32 v89, v1, v61
	v_mul_f32_e32 v1, v1, v60
	v_fmac_f32_e32 v11, v4, v56
	v_fma_f32 v56, v4, v57, -v5
	v_add_f32_e32 v5, v62, v105
	v_mul_f32_e32 v15, v7, v67
	v_mul_f32_e32 v7, v7, v66
	v_fmac_f32_e32 v89, v0, v60
	v_fma_f32 v0, v0, v61, -v1
	v_add_f32_e32 v1, v5, v106
	v_fma_f32 v9, v10, v90, -v9
	v_fma_f32 v57, v6, v67, -v7
	v_add_f32_e32 v4, v106, v13
	v_mul_f32_e32 v90, v3, v65
	v_sub_f32_e32 v7, v105, v106
	v_sub_f32_e32 v60, v95, v13
	v_add_f32_e32 v61, v105, v95
	v_mul_f32_e32 v3, v3, v64
	v_add_f32_e32 v1, v1, v13
	v_fmac_f32_e32 v15, v6, v66
	v_fma_f32 v6, -0.5, v4, v62
	v_sub_f32_e32 v10, v12, v9
	v_fmac_f32_e32 v90, v2, v64
	v_sub_f32_e32 v5, v14, v8
	v_add_f32_e32 v64, v7, v60
	v_fma_f32 v62, -0.5, v61, v62
	v_fma_f32 v65, v2, v65, -v3
	v_add_f32_e32 v2, v1, v95
	v_sub_f32_e32 v1, v106, v105
	v_sub_f32_e32 v3, v13, v95
	v_add_f32_e32 v7, v63, v12
	v_fmamk_f32 v4, v10, 0xbf737871, v6
	v_fmac_f32_e32 v6, 0x3f737871, v10
	v_fmamk_f32 v60, v5, 0x3f737871, v62
	v_add_f32_e32 v61, v14, v8
	v_add_f32_e32 v1, v1, v3
	v_fmac_f32_e32 v62, 0xbf737871, v5
	v_add_f32_e32 v3, v7, v14
	v_fmac_f32_e32 v4, 0xbf167918, v5
	v_fmac_f32_e32 v6, 0x3f167918, v5
	;; [unrolled: 1-line block ×3, first 2 shown]
	v_fma_f32 v7, -0.5, v61, v63
	v_sub_f32_e32 v67, v105, v95
	v_fmac_f32_e32 v62, 0x3f167918, v10
	v_add_f32_e32 v3, v3, v8
	v_add_f32_e32 v10, v12, v9
	v_fmac_f32_e32 v4, 0x3e9e377a, v64
	v_fmac_f32_e32 v6, 0x3e9e377a, v64
	v_fmamk_f32 v5, v67, 0x3f737871, v7
	v_sub_f32_e32 v13, v106, v13
	v_sub_f32_e32 v61, v12, v14
	;; [unrolled: 1-line block ×3, first 2 shown]
	v_fmac_f32_e32 v63, -0.5, v10
	v_add_f32_e32 v3, v3, v9
	v_fmac_f32_e32 v7, 0xbf737871, v67
	v_sub_f32_e32 v10, v14, v12
	v_sub_f32_e32 v8, v8, v9
	v_add_f32_e32 v9, v15, v89
	v_fmac_f32_e32 v60, 0x3e9e377a, v1
	v_fmac_f32_e32 v62, 0x3e9e377a, v1
	;; [unrolled: 1-line block ×3, first 2 shown]
	v_add_f32_e32 v1, v61, v64
	v_fmac_f32_e32 v7, 0xbf167918, v13
	v_add_f32_e32 v8, v10, v8
	v_add_f32_e32 v10, v11, v58
	v_fma_f32 v66, -0.5, v9, v58
	v_sub_f32_e32 v9, v56, v65
	v_fmamk_f32 v61, v13, 0xbf737871, v63
	v_fmac_f32_e32 v5, 0x3e9e377a, v1
	v_fmac_f32_e32 v63, 0x3f737871, v13
	;; [unrolled: 1-line block ×3, first 2 shown]
	v_add_f32_e32 v1, v15, v10
	v_fmamk_f32 v10, v9, 0xbf737871, v66
	v_sub_f32_e32 v13, v57, v0
	v_sub_f32_e32 v12, v11, v15
	;; [unrolled: 1-line block ×3, first 2 shown]
	v_fmac_f32_e32 v66, 0x3f737871, v9
	v_add_f32_e32 v64, v11, v90
	v_fmac_f32_e32 v10, 0xbf167918, v13
	v_fmac_f32_e32 v61, 0x3f167918, v67
	v_add_f32_e32 v12, v12, v14
	v_fmac_f32_e32 v66, 0x3f167918, v13
	v_fmac_f32_e32 v58, -0.5, v64
	v_fmac_f32_e32 v63, 0xbf167918, v67
	v_add_f32_e32 v1, v89, v1
	v_fmac_f32_e32 v10, 0x3e9e377a, v12
	v_fmac_f32_e32 v66, 0x3e9e377a, v12
	v_fmamk_f32 v12, v13, 0x3f737871, v58
	v_fmac_f32_e32 v58, 0xbf737871, v13
	v_add_f32_e32 v13, v56, v59
	v_fmac_f32_e32 v61, 0x3e9e377a, v8
	v_fmac_f32_e32 v63, 0x3e9e377a, v8
	v_add_f32_e32 v8, v90, v1
	v_add_f32_e32 v1, v57, v0
	v_sub_f32_e32 v14, v15, v11
	v_sub_f32_e32 v64, v89, v90
	v_fmac_f32_e32 v12, 0xbf167918, v9
	v_fmac_f32_e32 v58, 0x3f167918, v9
	v_add_f32_e32 v9, v57, v13
	v_add_f32_e32 v13, v56, v65
	v_fma_f32 v67, -0.5, v1, v59
	v_sub_f32_e32 v1, v11, v90
	v_add_f32_e32 v14, v14, v64
	v_sub_f32_e32 v15, v15, v89
	v_fmac_f32_e32 v59, -0.5, v13
	v_add_f32_e32 v9, v0, v9
	v_fmamk_f32 v11, v1, 0x3f737871, v67
	v_fmac_f32_e32 v12, 0x3e9e377a, v14
	v_fmac_f32_e32 v58, 0x3e9e377a, v14
	v_sub_f32_e32 v14, v56, v57
	v_sub_f32_e32 v64, v65, v0
	v_fmac_f32_e32 v67, 0xbf737871, v1
	v_fmamk_f32 v13, v15, 0xbf737871, v59
	v_sub_f32_e32 v56, v57, v56
	v_sub_f32_e32 v0, v0, v65
	v_fmac_f32_e32 v59, 0x3f737871, v15
	v_fmac_f32_e32 v11, 0x3f167918, v15
	v_add_f32_e32 v14, v14, v64
	v_fmac_f32_e32 v67, 0xbf167918, v15
	v_fmac_f32_e32 v13, 0x3f167918, v1
	v_add_f32_e32 v0, v56, v0
	v_fmac_f32_e32 v59, 0xbf167918, v1
	v_add_f32_e32 v9, v65, v9
	v_fmac_f32_e32 v11, 0x3e9e377a, v14
	v_fmac_f32_e32 v67, 0x3e9e377a, v14
	;; [unrolled: 1-line block ×4, first 2 shown]
	s_barrier
	buffer_gl0_inv
	ds_write2_b64 v103, v[2:3], v[4:5] offset1:3
	ds_write2_b64 v103, v[60:61], v[62:63] offset0:6 offset1:9
	ds_write_b64 v103, v[6:7] offset:96
	s_and_saveexec_b32 s1, vcc_lo
	s_cbranch_execz .LBB0_13
; %bb.12:
	v_mad_u16 v0, v101, 15, v102
	v_mov_b32_e32 v1, 3
	v_lshlrev_b32_sdwa v0, v1, v0 dst_sel:DWORD dst_unused:UNUSED_PAD src0_sel:DWORD src1_sel:WORD_0
	ds_write2_b64 v0, v[8:9], v[10:11] offset1:3
	ds_write2_b64 v0, v[12:13], v[58:59] offset0:6 offset1:9
	ds_write_b64 v0, v[66:67] offset:96
.LBB0_13:
	s_or_b32 exec_lo, exec_lo, s1
	s_waitcnt lgkmcnt(0)
	s_barrier
	buffer_gl0_inv
	s_and_saveexec_b32 s1, s0
	s_cbranch_execz .LBB0_15
; %bb.14:
	v_add_nc_u32_e32 v0, 0x2000, v97
	v_add_nc_u32_e32 v1, 0x800, v97
	v_add_nc_u32_e32 v6, 0x1000, v97
	ds_read2_b64 v[64:67], v0 offset0:56 offset1:191
	v_add_nc_u32_e32 v0, 0x1800, v97
	ds_read2_b64 v[2:5], v97 offset1:135
	ds_read_b64 v[87:88], v97 offset:10800
	ds_read2_b64 v[60:63], v1 offset0:14 offset1:149
	ds_read2_b64 v[6:9], v6 offset0:28 offset1:163
	;; [unrolled: 1-line block ×3, first 2 shown]
	s_waitcnt lgkmcnt(5)
	v_mov_b32_e32 v58, v64
	v_mov_b32_e32 v59, v65
.LBB0_15:
	s_or_b32 exec_lo, exec_lo, s1
	s_waitcnt lgkmcnt(0)
	s_barrier
	buffer_gl0_inv
	s_and_saveexec_b32 s1, s0
	s_cbranch_execz .LBB0_17
; %bb.16:
	v_mul_f32_e32 v0, v35, v87
	v_mul_f32_e32 v1, v29, v4
	;; [unrolled: 1-line block ×4, first 2 shown]
	v_fma_f32 v15, v34, v88, -v0
	v_fma_f32 v1, v28, v5, -v1
	v_mul_f32_e32 v0, v33, v66
	v_mul_f32_e32 v5, v31, v60
	;; [unrolled: 1-line block ×3, first 2 shown]
	v_fmac_f32_e32 v14, v28, v4
	v_fmac_f32_e32 v29, v34, v87
	v_add_f32_e32 v28, v15, v1
	v_fma_f32 v34, v32, v67, -v0
	v_fma_f32 v35, v30, v61, -v5
	v_mul_f32_e32 v31, v31, v61
	v_fmac_f32_e32 v33, v32, v66
	v_mul_f32_e32 v5, v23, v58
	v_mul_f32_e32 v32, v25, v62
	;; [unrolled: 1-line block ×3, first 2 shown]
	v_sub_f32_e32 v57, v14, v29
	v_add_f32_e32 v61, v34, v35
	v_fmac_f32_e32 v31, v30, v60
	v_fma_f32 v64, v22, v59, -v5
	v_fma_f32 v32, v24, v63, -v32
	v_mul_f32_e32 v25, v25, v63
	v_mul_f32_e32 v23, v23, v59
	;; [unrolled: 1-line block ×4, first 2 shown]
	v_fmamk_f32 v4, v57, 0x3e903f40, v56
	v_mul_f32_e32 v30, 0x3f575c64, v61
	v_sub_f32_e32 v0, v31, v33
	v_add_f32_e32 v63, v64, v32
	v_fmac_f32_e32 v25, v24, v62
	v_fmac_f32_e32 v23, v22, v58
	v_fma_f32 v22, v20, v13, -v5
	v_fma_f32 v24, v26, v7, -v59
	v_mul_f32_e32 v27, v27, v7
	v_mul_f32_e32 v21, v21, v13
	v_add_f32_e32 v4, v3, v4
	v_fmamk_f32 v60, v0, 0xbf0a6770, v30
	v_mul_f32_e32 v58, 0xbf27a4f4, v63
	v_sub_f32_e32 v59, v25, v23
	v_add_f32_e32 v13, v22, v24
	v_fmac_f32_e32 v27, v26, v6
	v_fmac_f32_e32 v21, v20, v12
	v_add_f32_e32 v4, v60, v4
	v_fmamk_f32 v5, v59, 0x3f4178ce, v58
	v_mul_f32_e32 v20, 0x3ed4b147, v13
	v_mul_f32_e32 v6, v19, v10
	v_sub_f32_e32 v26, v27, v21
	v_mul_f32_e32 v7, v17, v8
	v_sub_f32_e32 v60, v1, v15
	v_add_f32_e32 v4, v5, v4
	v_fma_f32 v12, v18, v11, -v6
	v_fmamk_f32 v5, v26, 0xbf68dda4, v20
	v_fma_f32 v62, v16, v9, -v7
	v_mul_f32_e32 v17, v17, v9
	v_mul_f32_e32 v19, v19, v11
	v_add_f32_e32 v65, v29, v14
	v_mul_f32_e32 v66, 0xbe903f40, v60
	v_sub_f32_e32 v87, v35, v34
	v_add_f32_e32 v4, v5, v4
	v_add_f32_e32 v67, v12, v62
	v_fmac_f32_e32 v17, v16, v8
	v_fmac_f32_e32 v19, v18, v10
	v_fmamk_f32 v5, v65, 0xbf75a155, v66
	v_add_f32_e32 v88, v33, v31
	v_mul_f32_e32 v16, 0x3f0a6770, v87
	v_sub_f32_e32 v89, v32, v64
	v_mul_f32_e32 v18, 0xbe11bafb, v67
	v_sub_f32_e32 v90, v17, v19
	v_add_f32_e32 v5, v2, v5
	v_fmamk_f32 v6, v88, 0x3f575c64, v16
	v_add_f32_e32 v91, v23, v25
	v_mul_f32_e32 v92, 0xbf4178ce, v89
	v_fmamk_f32 v7, v90, 0x3f7d64f0, v18
	v_sub_f32_e32 v93, v24, v22
	v_add_f32_e32 v6, v6, v5
	v_mul_f32_e32 v94, 0xbf27a4f4, v28
	v_fmamk_f32 v8, v91, 0xbf27a4f4, v92
	v_add_f32_e32 v5, v7, v4
	v_add_f32_e32 v95, v21, v27
	v_mul_f32_e32 v96, 0x3f68dda4, v93
	v_sub_f32_e32 v101, v62, v12
	v_add_f32_e32 v4, v8, v6
	v_fmamk_f32 v6, v57, 0x3f4178ce, v94
	v_mul_f32_e32 v102, 0xbe11bafb, v61
	v_fmamk_f32 v7, v95, 0x3ed4b147, v96
	v_add_f32_e32 v103, v19, v17
	v_mul_f32_e32 v105, 0xbf7d64f0, v101
	v_add_f32_e32 v6, v3, v6
	v_fmamk_f32 v8, v0, 0xbf7d64f0, v102
	v_mul_f32_e32 v106, 0x3f575c64, v63
	v_add_f32_e32 v4, v7, v4
	v_fmamk_f32 v7, v103, 0xbe11bafb, v105
	;; [unrolled: 3-line block ×21, first 2 shown]
	v_mul_f32_e32 v127, 0xbf75a155, v63
	v_mul_f32_e32 v128, 0xbf68dda4, v60
	v_add_f32_e32 v8, v11, v8
	v_fmamk_f32 v11, v103, 0xbf27a4f4, v125
	v_add_f32_e32 v10, v126, v10
	v_fmamk_f32 v126, v59, 0xbe903f40, v127
	v_mul_f32_e32 v129, 0xbe11bafb, v13
	v_fmamk_f32 v130, v65, 0x3ed4b147, v128
	v_mul_f32_e32 v131, 0xbf4178ce, v87
	v_add_f32_e32 v8, v11, v8
	v_add_f32_e32 v10, v126, v10
	v_fmamk_f32 v11, v26, 0xbf7d64f0, v129
	v_add_f32_e32 v126, v2, v130
	v_fmamk_f32 v130, v88, 0xbf27a4f4, v131
	v_mul_f32_e32 v132, 0x3e903f40, v89
	v_mul_f32_e32 v28, 0x3f575c64, v28
	;; [unrolled: 1-line block ×3, first 2 shown]
	v_add_f32_e32 v10, v11, v10
	v_add_f32_e32 v11, v130, v126
	v_fmamk_f32 v126, v91, 0xbf75a155, v132
	v_fmamk_f32 v130, v57, 0x3f0a6770, v28
	v_mul_f32_e32 v61, 0x3ed4b147, v61
	v_fmamk_f32 v134, v90, 0xbf0a6770, v133
	v_mul_f32_e32 v135, 0x3f7d64f0, v93
	v_add_f32_e32 v1, v1, v3
	v_add_f32_e32 v126, v126, v11
	;; [unrolled: 1-line block ×3, first 2 shown]
	v_fmamk_f32 v136, v0, 0x3f68dda4, v61
	v_mul_f32_e32 v63, 0xbe11bafb, v63
	v_fmamk_f32 v137, v95, 0xbe11bafb, v135
	v_add_f32_e32 v11, v134, v10
	v_mul_f32_e32 v134, 0x3f0a6770, v101
	v_add_f32_e32 v1, v35, v1
	v_add_f32_e32 v10, v136, v130
	v_fmamk_f32 v130, v59, 0x3f7d64f0, v63
	v_add_f32_e32 v126, v137, v126
	v_mul_f32_e32 v136, 0xbf27a4f4, v13
	v_fmamk_f32 v13, v103, 0x3f575c64, v134
	v_add_f32_e32 v14, v2, v14
	v_add_f32_e32 v1, v32, v1
	;; [unrolled: 1-line block ×3, first 2 shown]
	v_mul_f32_e32 v60, 0xbf0a6770, v60
	v_add_f32_e32 v10, v13, v126
	v_add_f32_e32 v13, v31, v14
	;; [unrolled: 1-line block ×3, first 2 shown]
	v_mul_f32_e32 v32, 0xbf68dda4, v87
	v_fmamk_f32 v31, v65, 0x3f575c64, v60
	v_fmamk_f32 v35, v26, 0x3f4178ce, v136
	v_add_f32_e32 v13, v25, v13
	v_add_f32_e32 v1, v62, v1
	v_mul_f32_e32 v24, 0xbf75a155, v67
	v_add_f32_e32 v25, v2, v31
	v_fmamk_f32 v31, v88, 0x3ed4b147, v32
	v_add_f32_e32 v13, v27, v13
	v_mul_f32_e32 v27, 0xbf7d64f0, v89
	v_add_f32_e32 v1, v12, v1
	v_add_f32_e32 v14, v35, v130
	v_fmamk_f32 v35, v90, 0x3e903f40, v24
	v_add_f32_e32 v25, v31, v25
	v_add_f32_e32 v17, v17, v13
	v_fmamk_f32 v12, v91, 0xbe11bafb, v27
	v_mul_f32_e32 v31, 0xbf4178ce, v93
	v_add_f32_e32 v1, v22, v1
	v_add_f32_e32 v13, v35, v14
	v_add_f32_e32 v14, v19, v17
	v_add_f32_e32 v12, v12, v25
	v_fmamk_f32 v17, v95, 0xbf27a4f4, v31
	v_mul_f32_e32 v22, 0xbe903f40, v101
	v_add_f32_e32 v1, v64, v1
	v_fmac_f32_e32 v56, 0xbe903f40, v57
	v_fmac_f32_e32 v30, 0x3f0a6770, v0
	v_add_f32_e32 v12, v17, v12
	v_fmamk_f32 v17, v103, 0xbf75a155, v22
	v_add_f32_e32 v1, v34, v1
	v_add_f32_e32 v19, v3, v56
	v_fmac_f32_e32 v58, 0xbf4178ce, v59
	v_fma_f32 v16, 0x3f575c64, v88, -v16
	v_add_f32_e32 v12, v17, v12
	v_add_f32_e32 v15, v15, v1
	v_fma_f32 v1, 0xbf75a155, v65, -v66
	v_add_f32_e32 v17, v30, v19
	v_fmac_f32_e32 v20, 0x3f68dda4, v26
	v_fmac_f32_e32 v18, 0xbf7d64f0, v90
	v_add_f32_e32 v14, v21, v14
	v_add_f32_e32 v1, v2, v1
	;; [unrolled: 1-line block ×3, first 2 shown]
	v_fmac_f32_e32 v122, 0xbf68dda4, v57
	v_fmac_f32_e32 v124, 0xbf4178ce, v0
	v_add_f32_e32 v14, v23, v14
	v_add_f32_e32 v1, v16, v1
	v_fma_f32 v16, 0xbf27a4f4, v91, -v92
	v_add_f32_e32 v17, v20, v17
	v_fma_f32 v20, 0xbe11bafb, v88, -v109
	v_fma_f32 v23, 0xbf75a155, v88, -v119
	v_add_f32_e32 v14, v33, v14
	v_add_f32_e32 v1, v16, v1
	v_fma_f32 v16, 0x3ed4b147, v95, -v96
	v_add_f32_e32 v17, v18, v17
	v_fma_f32 v18, 0xbf27a4f4, v65, -v107
	;; [unrolled: 2-line block ×4, first 2 shown]
	v_add_f32_e32 v18, v2, v18
	v_fmac_f32_e32 v127, 0x3e903f40, v59
	v_fma_f32 v30, 0xbf27a4f4, v88, -v131
	v_fmac_f32_e32 v94, 0xbf4178ce, v57
	v_add_f32_e32 v16, v16, v1
	v_add_f32_e32 v1, v20, v18
	v_fma_f32 v18, 0x3f575c64, v91, -v111
	v_fma_f32 v20, 0xbe11bafb, v65, -v117
	v_fmac_f32_e32 v112, 0xbf7d64f0, v57
	v_fmac_f32_e32 v28, 0xbf0a6770, v57
	v_add_f32_e32 v19, v3, v94
	v_add_f32_e32 v1, v18, v1
	v_fma_f32 v18, 0xbf75a155, v95, -v113
	v_add_f32_e32 v20, v2, v20
	v_fmac_f32_e32 v102, 0x3f7d64f0, v0
	v_add_f32_e32 v21, v3, v112
	v_fmac_f32_e32 v114, 0x3e903f40, v0
	v_add_f32_e32 v1, v18, v1
	v_fma_f32 v18, 0x3ed4b147, v103, -v115
	v_add_f32_e32 v20, v23, v20
	v_fma_f32 v23, 0x3ed4b147, v91, -v121
	v_fmac_f32_e32 v61, 0xbf68dda4, v0
	v_add_f32_e32 v19, v102, v19
	v_add_f32_e32 v18, v18, v1
	v_fmac_f32_e32 v106, 0xbf0a6770, v59
	v_add_f32_e32 v1, v23, v20
	v_fma_f32 v20, 0x3f575c64, v95, -v123
	v_add_f32_e32 v23, v3, v122
	v_add_f32_e32 v3, v3, v28
	;; [unrolled: 1-line block ×3, first 2 shown]
	v_fmac_f32_e32 v116, 0x3f68dda4, v59
	v_add_f32_e32 v1, v20, v1
	v_fma_f32 v20, 0x3ed4b147, v65, -v128
	v_add_f32_e32 v23, v124, v23
	v_add_f32_e32 v3, v61, v3
	v_fmac_f32_e32 v63, 0xbf7d64f0, v59
	v_add_f32_e32 v19, v106, v19
	v_add_f32_e32 v29, v2, v20
	v_add_f32_e32 v20, v25, v1
	v_add_f32_e32 v1, v127, v23
	v_fma_f32 v25, 0xbf75a155, v91, -v132
	v_fmac_f32_e32 v108, 0xbe903f40, v26
	v_add_f32_e32 v23, v30, v29
	v_fma_f32 v29, 0x3f575c64, v65, -v60
	v_add_f32_e32 v21, v116, v21
	v_fmac_f32_e32 v118, 0xbf0a6770, v26
	v_fmac_f32_e32 v129, 0x3f7d64f0, v26
	v_add_f32_e32 v0, v25, v23
	v_add_f32_e32 v2, v2, v29
	v_fma_f32 v23, 0x3ed4b147, v88, -v32
	v_fma_f32 v25, 0xbe11bafb, v95, -v135
	v_add_f32_e32 v3, v63, v3
	v_fmac_f32_e32 v136, 0xbf4178ce, v26
	v_add_f32_e32 v19, v108, v19
	v_add_f32_e32 v2, v23, v2
	v_fma_f32 v23, 0xbe11bafb, v91, -v27
	v_add_f32_e32 v0, v25, v0
	v_mov_b32_e32 v25, 0xa5
	v_fmac_f32_e32 v110, 0x3f68dda4, v90
	v_add_f32_e32 v21, v118, v21
	v_add_f32_e32 v2, v23, v2
	v_fma_f32 v23, 0xbf27a4f4, v95, -v31
	v_mul_u32_u24_sdwa v25, v100, v25 dst_sel:DWORD dst_unused:UNUSED_PAD src0_sel:WORD_0 src1_sel:DWORD
	v_fmac_f32_e32 v120, 0xbf4178ce, v90
	v_add_f32_e32 v1, v129, v1
	v_fmac_f32_e32 v133, 0x3f0a6770, v90
	v_fma_f32 v26, 0x3f575c64, v103, -v134
	v_add_f32_e32 v3, v136, v3
	v_fmac_f32_e32 v24, 0xbe903f40, v90
	v_add_f32_e32 v2, v23, v2
	v_fma_f32 v22, 0xbf75a155, v103, -v22
	v_add_lshl_u32 v23, v25, v99, 3
	v_add_f32_e32 v19, v110, v19
	v_add_f32_e32 v21, v120, v21
	v_add_f32_e32 v1, v133, v1
	v_add_f32_e32 v0, v26, v0
	v_add_f32_e32 v3, v24, v3
	v_add_f32_e32 v2, v22, v2
	ds_write2_b64 v23, v[14:15], v[12:13] offset1:15
	ds_write2_b64 v23, v[10:11], v[8:9] offset0:30 offset1:45
	ds_write2_b64 v23, v[6:7], v[4:5] offset0:60 offset1:75
	;; [unrolled: 1-line block ×4, first 2 shown]
	ds_write_b64 v23, v[2:3] offset:1200
.LBB0_17:
	s_or_b32 exec_lo, exec_lo, s1
	v_add_nc_u32_e32 v18, 0x800, v97
	v_add_nc_u32_e32 v19, 0x1e00, v97
	;; [unrolled: 1-line block ×3, first 2 shown]
	s_waitcnt lgkmcnt(0)
	s_barrier
	buffer_gl0_inv
	ds_read_b64 v[16:17], v97 offset:10560
	ds_read2_b64 v[0:3], v18 offset0:74 offset1:239
	ds_read2_b64 v[4:7], v19 offset0:30 offset1:195
	;; [unrolled: 1-line block ×3, first 2 shown]
	ds_read2_b64 v[12:15], v97 offset1:165
	s_waitcnt lgkmcnt(0)
	s_barrier
	buffer_gl0_inv
	s_mov_b32 s0, 0xef473283
	s_mov_b32 s1, 0x3f4610e4
	s_mul_i32 s4, s9, 0xffffe638
	s_sub_i32 s4, s4, s8
	v_mul_f32_e32 v22, v37, v3
	v_mul_f32_e32 v24, v37, v2
	;; [unrolled: 1-line block ×5, first 2 shown]
	v_fmac_f32_e32 v22, v36, v2
	v_fma_f32 v3, v36, v3, -v24
	v_fmac_f32_e32 v25, v38, v4
	v_fma_f32 v5, v38, v5, -v26
	v_mul_f32_e32 v20, v43, v17
	v_mul_f32_e32 v27, v37, v9
	;; [unrolled: 1-line block ×5, first 2 shown]
	v_fmac_f32_e32 v29, v38, v6
	v_add_f32_e32 v2, v22, v25
	v_add_f32_e32 v6, v3, v5
	v_mul_f32_e32 v21, v43, v16
	v_mul_f32_e32 v32, v41, v10
	v_fmac_f32_e32 v20, v42, v16
	v_fmac_f32_e32 v27, v36, v8
	v_fma_f32 v9, v36, v9, -v28
	v_fma_f32 v16, v38, v7, -v30
	v_fmac_f32_e32 v31, v40, v10
	v_sub_f32_e32 v7, v3, v5
	v_fma_f32 v2, -0.5, v2, v12
	v_add_f32_e32 v8, v13, v3
	v_sub_f32_e32 v10, v22, v25
	v_fma_f32 v3, -0.5, v6, v13
	v_fma_f32 v17, v42, v17, -v21
	v_fmamk_f32 v6, v7, 0xbf5db3d7, v2
	v_fmac_f32_e32 v2, 0x3f5db3d7, v7
	v_add_f32_e32 v5, v8, v5
	v_add_f32_e32 v8, v27, v29
	v_fmamk_f32 v7, v10, 0x3f5db3d7, v3
	v_fmac_f32_e32 v3, 0xbf5db3d7, v10
	v_add_f32_e32 v10, v9, v16
	v_fma_f32 v21, v40, v11, -v32
	v_add_f32_e32 v4, v12, v22
	v_add_f32_e32 v11, v14, v27
	v_fma_f32 v14, -0.5, v8, v14
	v_sub_f32_e32 v12, v9, v16
	v_add_f32_e32 v9, v15, v9
	v_fmac_f32_e32 v15, -0.5, v10
	v_sub_f32_e32 v13, v27, v29
	v_add_f32_e32 v8, v11, v29
	v_fmamk_f32 v10, v12, 0xbf5db3d7, v14
	v_fmac_f32_e32 v14, 0x3f5db3d7, v12
	v_add_f32_e32 v12, v31, v20
	v_fmamk_f32 v11, v13, 0x3f5db3d7, v15
	v_fmac_f32_e32 v15, 0xbf5db3d7, v13
	v_add_f32_e32 v13, v21, v17
	v_add_f32_e32 v9, v9, v16
	v_add_f32_e32 v16, v0, v31
	v_fma_f32 v0, -0.5, v12, v0
	v_sub_f32_e32 v22, v21, v17
	v_add_f32_e32 v21, v1, v21
	v_fmac_f32_e32 v1, -0.5, v13
	v_sub_f32_e32 v24, v31, v20
	v_add_f32_e32 v4, v4, v25
	v_add_f32_e32 v12, v16, v20
	v_fmamk_f32 v16, v22, 0xbf5db3d7, v0
	v_add_f32_e32 v13, v21, v17
	v_fmamk_f32 v17, v24, 0x3f5db3d7, v1
	v_add_nc_u32_e32 v20, 0x1e00, v104
	v_fmac_f32_e32 v0, 0x3f5db3d7, v22
	v_fmac_f32_e32 v1, 0xbf5db3d7, v24
	ds_write2_b64 v97, v[4:5], v[6:7] offset1:165
	ds_write2_b64 v18, v[2:3], v[8:9] offset0:74 offset1:239
	ds_write2_b64 v23, v[10:11], v[14:15] offset0:20 offset1:185
	;; [unrolled: 1-line block ×3, first 2 shown]
	ds_write_b64 v104, v[0:1] offset:10560
	s_waitcnt lgkmcnt(0)
	s_barrier
	buffer_gl0_inv
	ds_read2_b64 v[0:3], v18 offset0:74 offset1:239
	ds_read2_b64 v[4:7], v19 offset0:30 offset1:195
	;; [unrolled: 1-line block ×3, first 2 shown]
	ds_read_b64 v[16:17], v97 offset:10560
	ds_read2_b64 v[12:15], v97 offset1:165
	s_waitcnt lgkmcnt(4)
	v_mul_f32_e32 v20, v53, v3
	s_waitcnt lgkmcnt(3)
	v_mul_f32_e32 v22, v55, v5
	v_mul_f32_e32 v21, v53, v2
	;; [unrolled: 1-line block ×3, first 2 shown]
	s_waitcnt lgkmcnt(2)
	v_mul_f32_e32 v25, v45, v11
	v_fmac_f32_e32 v20, v52, v2
	v_mul_f32_e32 v2, v55, v4
	v_fmac_f32_e32 v22, v54, v4
	v_mul_f32_e32 v4, v49, v8
	v_fma_f32 v3, v52, v3, -v21
	v_mul_f32_e32 v21, v49, v9
	v_fma_f32 v5, v54, v5, -v2
	;; [unrolled: 2-line block ×3, first 2 shown]
	v_mul_f32_e32 v4, v45, v10
	v_fmac_f32_e32 v21, v48, v8
	v_fmac_f32_e32 v24, v50, v6
	v_fma_f32 v26, v50, v7, -v2
	s_waitcnt lgkmcnt(1)
	v_mul_f32_e32 v2, v47, v16
	v_fma_f32 v28, v44, v11, -v4
	v_add_f32_e32 v4, v20, v22
	v_add_f32_e32 v7, v3, v5
	v_mul_f32_e32 v27, v47, v17
	v_fmac_f32_e32 v25, v44, v10
	s_waitcnt lgkmcnt(0)
	v_add_f32_e32 v6, v12, v20
	v_fma_f32 v17, v46, v17, -v2
	v_fma_f32 v2, -0.5, v4, v12
	v_sub_f32_e32 v8, v3, v5
	v_add_f32_e32 v10, v13, v3
	v_fma_f32 v3, -0.5, v7, v13
	v_sub_f32_e32 v11, v20, v22
	v_add_f32_e32 v4, v6, v22
	v_fmamk_f32 v6, v8, 0xbf5db3d7, v2
	v_fmac_f32_e32 v2, 0x3f5db3d7, v8
	v_add_f32_e32 v8, v21, v24
	v_fmamk_f32 v7, v11, 0x3f5db3d7, v3
	v_fmac_f32_e32 v3, 0xbf5db3d7, v11
	v_add_f32_e32 v11, v9, v26
	v_fmac_f32_e32 v27, v46, v16
	v_add_f32_e32 v5, v10, v5
	v_add_f32_e32 v10, v14, v21
	v_fma_f32 v14, -0.5, v8, v14
	v_sub_f32_e32 v12, v9, v26
	v_add_f32_e32 v9, v15, v9
	v_fmac_f32_e32 v15, -0.5, v11
	v_sub_f32_e32 v13, v21, v24
	v_add_f32_e32 v8, v10, v24
	v_fmamk_f32 v10, v12, 0xbf5db3d7, v14
	v_fmac_f32_e32 v14, 0x3f5db3d7, v12
	v_add_f32_e32 v12, v25, v27
	v_fmamk_f32 v11, v13, 0x3f5db3d7, v15
	v_fmac_f32_e32 v15, 0xbf5db3d7, v13
	v_add_f32_e32 v13, v28, v17
	v_add_f32_e32 v16, v0, v25
	v_add_f32_e32 v21, v1, v28
	v_fma_f32 v0, -0.5, v12, v0
	v_sub_f32_e32 v20, v28, v17
	v_fmac_f32_e32 v1, -0.5, v13
	v_sub_f32_e32 v22, v25, v27
	v_add_f32_e32 v9, v9, v26
	v_add_f32_e32 v12, v16, v27
	;; [unrolled: 1-line block ×3, first 2 shown]
	v_fmamk_f32 v16, v20, 0xbf5db3d7, v0
	v_fmamk_f32 v17, v22, 0x3f5db3d7, v1
	v_fmac_f32_e32 v0, 0x3f5db3d7, v20
	v_fmac_f32_e32 v1, 0xbf5db3d7, v22
	ds_write_b64 v97, v[6:7] offset:3960
	v_add_nc_u32_e32 v6, 0x2400, v97
	ds_write_b64 v97, v[2:3] offset:7920
	ds_write2_b64 v97, v[4:5], v[8:9] offset1:165
	ds_write_b64 v97, v[12:13] offset:2640
	ds_write2_b64 v23, v[10:11], v[16:17] offset0:20 offset1:185
	ds_write2_b64 v6, v[14:15], v[0:1] offset0:3 offset1:168
	s_waitcnt lgkmcnt(0)
	s_barrier
	buffer_gl0_inv
	ds_read2_b64 v[0:3], v97 offset1:165
	ds_read2_b64 v[4:7], v18 offset0:74 offset1:239
	s_waitcnt lgkmcnt(1)
	v_mul_f32_e32 v8, v82, v1
	v_mul_f32_e32 v26, v70, v3
	s_waitcnt lgkmcnt(0)
	v_mul_f32_e32 v29, v76, v5
	v_fmac_f32_e32 v8, v81, v0
	v_mul_f32_e32 v0, v82, v0
	v_fmac_f32_e32 v26, v69, v2
	v_fmac_f32_e32 v29, v75, v4
	v_mul_f32_e32 v4, v76, v4
	v_cvt_f64_f32_e32 v[10:11], v8
	v_fma_f32 v9, v81, v1, -v0
	v_mad_u64_u32 v[0:1], null, s10, v68, 0
	v_mul_f32_e32 v8, v86, v7
	v_cvt_f64_f32_e32 v[26:27], v26
	v_cvt_f64_f32_e32 v[12:13], v9
	v_fma_f32 v4, v75, v5, -v4
	v_fmac_f32_e32 v8, v85, v6
	v_mad_u64_u32 v[20:21], null, s11, v68, v[1:2]
	v_mul_f32_e32 v6, v86, v6
	v_mul_f32_e32 v2, v70, v2
	v_cvt_f64_f32_e32 v[14:15], v8
	v_cvt_f64_f32_e32 v[4:5], v4
	v_fma_f32 v16, v85, v7, -v6
	v_mov_b32_e32 v1, v20
	ds_read2_b64 v[6:9], v19 offset0:30 offset1:195
	v_mad_u64_u32 v[18:19], null, s8, v98, 0
	v_mul_f64 v[10:11], v[10:11], s[0:1]
	v_cvt_f64_f32_e32 v[16:17], v16
	v_lshlrev_b64 v[0:1], 3, v[0:1]
	v_mul_f64 v[20:21], v[12:13], s[0:1]
	v_add_co_u32 v0, vcc_lo, s2, v0
	v_add_co_ci_u32_e32 v1, vcc_lo, s3, v1, vcc_lo
	s_mul_i32 s2, s9, 0xf78
	s_mul_hi_u32 s3, s8, 0xf78
	v_mul_f64 v[14:15], v[14:15], s[0:1]
	s_add_i32 s3, s3, s2
	s_mul_i32 s2, s8, 0xf78
	v_mul_f64 v[4:5], v[4:5], s[0:1]
	v_cvt_f32_f64_e32 v22, v[10:11]
	v_mul_f64 v[16:17], v[16:17], s[0:1]
	v_mad_u64_u32 v[12:13], null, s9, v98, v[19:20]
	s_waitcnt lgkmcnt(0)
	v_mul_f32_e32 v13, v84, v7
	v_mul_f32_e32 v19, v84, v6
	v_fmac_f32_e32 v13, v83, v6
	v_fma_f32 v10, v83, v7, -v19
	v_mov_b32_e32 v19, v12
	v_cvt_f32_f64_e32 v14, v[14:15]
	v_cvt_f64_f32_e32 v[6:7], v13
	v_cvt_f64_f32_e32 v[24:25], v10
	ds_read2_b64 v[10:13], v23 offset0:20 offset1:185
	v_lshlrev_b64 v[18:19], 3, v[18:19]
	v_cvt_f32_f64_e32 v23, v[20:21]
	v_cvt_f32_f64_e32 v15, v[16:17]
	v_fma_f32 v20, v69, v3, -v2
	v_mul_f64 v[16:17], v[26:27], s[0:1]
	v_mul_f32_e32 v26, v78, v9
	v_add_co_u32 v0, vcc_lo, v0, v18
	v_add_co_ci_u32_e32 v1, vcc_lo, v1, v19, vcc_lo
	ds_read_b64 v[18:19], v97 offset:10560
	v_mul_f32_e32 v27, v78, v8
	v_cvt_f64_f32_e32 v[20:21], v20
	v_fmac_f32_e32 v26, v77, v8
	v_fma_f32 v27, v77, v9, -v27
	s_waitcnt lgkmcnt(1)
	v_mul_f32_e32 v28, v80, v11
	v_mul_f32_e32 v30, v72, v13
	;; [unrolled: 1-line block ×3, first 2 shown]
	v_mul_f64 v[2:3], v[24:25], s[0:1]
	v_mul_f64 v[6:7], v[6:7], s[0:1]
	v_fmac_f32_e32 v28, v79, v10
	v_mul_f32_e32 v10, v80, v10
	v_fmac_f32_e32 v30, v71, v12
	v_fma_f32 v31, v71, v13, -v31
	v_add_co_u32 v12, vcc_lo, v0, s2
	v_fma_f32 v10, v79, v11, -v10
	s_waitcnt lgkmcnt(0)
	v_mul_f32_e32 v32, v74, v19
	v_mul_f32_e32 v33, v74, v18
	v_cvt_f64_f32_e32 v[24:25], v28
	v_cvt_f64_f32_e32 v[28:29], v29
	;; [unrolled: 1-line block ×3, first 2 shown]
	v_fmac_f32_e32 v32, v73, v18
	v_fma_f32 v34, v73, v19, -v33
	v_cvt_f64_f32_e32 v[10:11], v26
	v_cvt_f64_f32_e32 v[26:27], v27
	;; [unrolled: 1-line block ×6, first 2 shown]
	v_mul_f64 v[20:21], v[20:21], s[0:1]
	v_add_co_ci_u32_e32 v13, vcc_lo, s3, v1, vcc_lo
	v_add_co_u32 v36, vcc_lo, v12, s2
	v_cvt_f32_f64_e32 v6, v[6:7]
	v_add_co_ci_u32_e32 v37, vcc_lo, s3, v13, vcc_lo
	v_cvt_f32_f64_e32 v7, v[2:3]
	v_cvt_f32_f64_e32 v16, v[16:17]
	global_store_dwordx2 v[0:1], v[22:23], off
	global_store_dwordx2 v[12:13], v[14:15], off
	v_mul_f64 v[24:25], v[24:25], s[0:1]
	v_mad_u64_u32 v[2:3], null, 0xffffe638, s8, v[36:37]
	v_mul_f64 v[8:9], v[8:9], s[0:1]
	v_mul_f64 v[28:29], v[28:29], s[0:1]
	;; [unrolled: 1-line block ×8, first 2 shown]
	v_add_nc_u32_e32 v3, s4, v3
	v_cvt_f32_f64_e32 v17, v[20:21]
	global_store_dwordx2 v[36:37], v[6:7], off
	v_cvt_f32_f64_e32 v20, v[24:25]
	v_cvt_f32_f64_e32 v21, v[8:9]
	v_add_co_u32 v8, vcc_lo, v2, s2
	v_add_co_ci_u32_e32 v9, vcc_lo, s3, v3, vcc_lo
	v_cvt_f32_f64_e32 v10, v[10:11]
	v_add_co_u32 v24, vcc_lo, v8, s2
	v_add_co_ci_u32_e32 v25, vcc_lo, s3, v9, vcc_lo
	v_cvt_f32_f64_e32 v11, v[26:27]
	v_cvt_f32_f64_e32 v26, v[28:29]
	v_cvt_f32_f64_e32 v27, v[4:5]
	v_mad_u64_u32 v[4:5], null, 0xffffe638, s8, v[24:25]
	v_cvt_f32_f64_e32 v18, v[18:19]
	v_cvt_f32_f64_e32 v19, v[30:31]
	;; [unrolled: 1-line block ×4, first 2 shown]
	global_store_dwordx2 v[2:3], v[16:17], off
	v_add_nc_u32_e32 v5, s4, v5
	v_add_co_u32 v0, vcc_lo, v4, s2
	v_add_co_ci_u32_e32 v1, vcc_lo, s3, v5, vcc_lo
	v_add_co_u32 v2, vcc_lo, v0, s2
	v_add_co_ci_u32_e32 v3, vcc_lo, s3, v1, vcc_lo
	global_store_dwordx2 v[8:9], v[20:21], off
	global_store_dwordx2 v[24:25], v[10:11], off
	;; [unrolled: 1-line block ×5, first 2 shown]
.LBB0_18:
	s_endpgm
	.section	.rodata,"a",@progbits
	.p2align	6, 0x0
	.amdhsa_kernel bluestein_single_back_len1485_dim1_sp_op_CI_CI
		.amdhsa_group_segment_fixed_size 11880
		.amdhsa_private_segment_fixed_size 0
		.amdhsa_kernarg_size 104
		.amdhsa_user_sgpr_count 6
		.amdhsa_user_sgpr_private_segment_buffer 1
		.amdhsa_user_sgpr_dispatch_ptr 0
		.amdhsa_user_sgpr_queue_ptr 0
		.amdhsa_user_sgpr_kernarg_segment_ptr 1
		.amdhsa_user_sgpr_dispatch_id 0
		.amdhsa_user_sgpr_flat_scratch_init 0
		.amdhsa_user_sgpr_private_segment_size 0
		.amdhsa_wavefront_size32 1
		.amdhsa_uses_dynamic_stack 0
		.amdhsa_system_sgpr_private_segment_wavefront_offset 0
		.amdhsa_system_sgpr_workgroup_id_x 1
		.amdhsa_system_sgpr_workgroup_id_y 0
		.amdhsa_system_sgpr_workgroup_id_z 0
		.amdhsa_system_sgpr_workgroup_info 0
		.amdhsa_system_vgpr_workitem_id 0
		.amdhsa_next_free_vgpr 182
		.amdhsa_next_free_sgpr 20
		.amdhsa_reserve_vcc 1
		.amdhsa_reserve_flat_scratch 0
		.amdhsa_float_round_mode_32 0
		.amdhsa_float_round_mode_16_64 0
		.amdhsa_float_denorm_mode_32 3
		.amdhsa_float_denorm_mode_16_64 3
		.amdhsa_dx10_clamp 1
		.amdhsa_ieee_mode 1
		.amdhsa_fp16_overflow 0
		.amdhsa_workgroup_processor_mode 1
		.amdhsa_memory_ordered 1
		.amdhsa_forward_progress 0
		.amdhsa_shared_vgpr_count 0
		.amdhsa_exception_fp_ieee_invalid_op 0
		.amdhsa_exception_fp_denorm_src 0
		.amdhsa_exception_fp_ieee_div_zero 0
		.amdhsa_exception_fp_ieee_overflow 0
		.amdhsa_exception_fp_ieee_underflow 0
		.amdhsa_exception_fp_ieee_inexact 0
		.amdhsa_exception_int_div_zero 0
	.end_amdhsa_kernel
	.text
.Lfunc_end0:
	.size	bluestein_single_back_len1485_dim1_sp_op_CI_CI, .Lfunc_end0-bluestein_single_back_len1485_dim1_sp_op_CI_CI
                                        ; -- End function
	.section	.AMDGPU.csdata,"",@progbits
; Kernel info:
; codeLenInByte = 12364
; NumSgprs: 22
; NumVgprs: 182
; ScratchSize: 0
; MemoryBound: 0
; FloatMode: 240
; IeeeMode: 1
; LDSByteSize: 11880 bytes/workgroup (compile time only)
; SGPRBlocks: 2
; VGPRBlocks: 22
; NumSGPRsForWavesPerEU: 22
; NumVGPRsForWavesPerEU: 182
; Occupancy: 5
; WaveLimiterHint : 1
; COMPUTE_PGM_RSRC2:SCRATCH_EN: 0
; COMPUTE_PGM_RSRC2:USER_SGPR: 6
; COMPUTE_PGM_RSRC2:TRAP_HANDLER: 0
; COMPUTE_PGM_RSRC2:TGID_X_EN: 1
; COMPUTE_PGM_RSRC2:TGID_Y_EN: 0
; COMPUTE_PGM_RSRC2:TGID_Z_EN: 0
; COMPUTE_PGM_RSRC2:TIDIG_COMP_CNT: 0
	.text
	.p2alignl 6, 3214868480
	.fill 48, 4, 3214868480
	.type	__hip_cuid_e47741de5464ac8e,@object ; @__hip_cuid_e47741de5464ac8e
	.section	.bss,"aw",@nobits
	.globl	__hip_cuid_e47741de5464ac8e
__hip_cuid_e47741de5464ac8e:
	.byte	0                               ; 0x0
	.size	__hip_cuid_e47741de5464ac8e, 1

	.ident	"AMD clang version 19.0.0git (https://github.com/RadeonOpenCompute/llvm-project roc-6.4.0 25133 c7fe45cf4b819c5991fe208aaa96edf142730f1d)"
	.section	".note.GNU-stack","",@progbits
	.addrsig
	.addrsig_sym __hip_cuid_e47741de5464ac8e
	.amdgpu_metadata
---
amdhsa.kernels:
  - .args:
      - .actual_access:  read_only
        .address_space:  global
        .offset:         0
        .size:           8
        .value_kind:     global_buffer
      - .actual_access:  read_only
        .address_space:  global
        .offset:         8
        .size:           8
        .value_kind:     global_buffer
      - .actual_access:  read_only
        .address_space:  global
        .offset:         16
        .size:           8
        .value_kind:     global_buffer
      - .actual_access:  read_only
        .address_space:  global
        .offset:         24
        .size:           8
        .value_kind:     global_buffer
      - .actual_access:  read_only
        .address_space:  global
        .offset:         32
        .size:           8
        .value_kind:     global_buffer
      - .offset:         40
        .size:           8
        .value_kind:     by_value
      - .address_space:  global
        .offset:         48
        .size:           8
        .value_kind:     global_buffer
      - .address_space:  global
        .offset:         56
        .size:           8
        .value_kind:     global_buffer
      - .address_space:  global
        .offset:         64
        .size:           8
        .value_kind:     global_buffer
      - .address_space:  global
        .offset:         72
        .size:           8
        .value_kind:     global_buffer
      - .offset:         80
        .size:           4
        .value_kind:     by_value
      - .address_space:  global
        .offset:         88
        .size:           8
        .value_kind:     global_buffer
      - .address_space:  global
        .offset:         96
        .size:           8
        .value_kind:     global_buffer
    .group_segment_fixed_size: 11880
    .kernarg_segment_align: 8
    .kernarg_segment_size: 104
    .language:       OpenCL C
    .language_version:
      - 2
      - 0
    .max_flat_workgroup_size: 165
    .name:           bluestein_single_back_len1485_dim1_sp_op_CI_CI
    .private_segment_fixed_size: 0
    .sgpr_count:     22
    .sgpr_spill_count: 0
    .symbol:         bluestein_single_back_len1485_dim1_sp_op_CI_CI.kd
    .uniform_work_group_size: 1
    .uses_dynamic_stack: false
    .vgpr_count:     182
    .vgpr_spill_count: 0
    .wavefront_size: 32
    .workgroup_processor_mode: 1
amdhsa.target:   amdgcn-amd-amdhsa--gfx1030
amdhsa.version:
  - 1
  - 2
...

	.end_amdgpu_metadata
